;; amdgpu-corpus repo=ROCm/rocFFT kind=compiled arch=gfx1100 opt=O3
	.text
	.amdgcn_target "amdgcn-amd-amdhsa--gfx1100"
	.amdhsa_code_object_version 6
	.protected	bluestein_single_back_len1820_dim1_dp_op_CI_CI ; -- Begin function bluestein_single_back_len1820_dim1_dp_op_CI_CI
	.globl	bluestein_single_back_len1820_dim1_dp_op_CI_CI
	.p2align	8
	.type	bluestein_single_back_len1820_dim1_dp_op_CI_CI,@function
bluestein_single_back_len1820_dim1_dp_op_CI_CI: ; @bluestein_single_back_len1820_dim1_dp_op_CI_CI
; %bb.0:
	s_load_b128 s[16:19], s[0:1], 0x28
	v_mul_u32_u24_e32 v1, 0x169, v0
	s_mov_b32 s2, exec_lo
	v_mov_b32_e32 v14, 0
	s_delay_alu instid0(VALU_DEP_2) | instskip(NEXT) | instid1(VALU_DEP_1)
	v_lshrrev_b32_e32 v1, 16, v1
	v_add_nc_u32_e32 v13, s15, v1
	s_waitcnt lgkmcnt(0)
	s_delay_alu instid0(VALU_DEP_1)
	v_cmpx_gt_u64_e64 s[16:17], v[13:14]
	s_cbranch_execz .LBB0_18
; %bb.1:
	s_clause 0x1
	s_load_b128 s[4:7], s[0:1], 0x18
	s_load_b128 s[8:11], s[0:1], 0x0
	v_mul_lo_u16 v1, 0xb6, v1
	s_mov_b32 s16, 0x372fe950
	s_mov_b32 s17, 0x3fd3c6ef
	v_mov_b32_e32 v11, v13
	s_delay_alu instid0(VALU_DEP_2) | instskip(NEXT) | instid1(VALU_DEP_1)
	v_sub_nc_u16 v0, v0, v1
	v_and_b32_e32 v16, 0xffff, v0
	s_delay_alu instid0(VALU_DEP_1)
	v_lshlrev_b32_e32 v212, 4, v16
	s_waitcnt lgkmcnt(0)
	s_load_b128 s[12:15], s[4:5], 0x0
	s_clause 0x1
	global_load_b128 v[81:84], v212, s[8:9]
	global_load_b128 v[85:88], v212, s[8:9] offset:2912
	v_add_co_u32 v255, s2, s8, v212
	s_delay_alu instid0(VALU_DEP_1)
	v_add_co_ci_u32_e64 v192, null, s9, 0, s2
	s_clause 0x1
	scratch_store_b64 off, v[11:12], off offset:20
	scratch_store_b32 off, v16, off
	v_add_co_u32 v3, vcc_lo, 0x1000, v255
	v_add_co_ci_u32_e32 v4, vcc_lo, 0, v192, vcc_lo
	v_add_co_u32 v7, vcc_lo, 0x2000, v255
	v_add_co_ci_u32_e32 v8, vcc_lo, 0, v192, vcc_lo
	;; [unrolled: 2-line block ×3, first 2 shown]
	s_waitcnt lgkmcnt(0)
	v_mad_u64_u32 v[1:2], null, s14, v13, 0
	v_mad_u64_u32 v[5:6], null, s12, v16, 0
	global_load_b128 v[89:92], v[3:4], off offset:1728
	s_mul_i32 s2, s13, 0xb60
	s_mul_hi_u32 s3, s12, 0xb60
	s_mul_i32 s4, s12, 0xb60
	v_mad_u64_u32 v[11:12], null, s15, v13, v[2:3]
	v_mad_u64_u32 v[14:15], null, s13, v16, v[6:7]
	v_add_co_u32 v12, vcc_lo, 0x4000, v255
	v_add_co_ci_u32_e32 v13, vcc_lo, 0, v192, vcc_lo
	s_delay_alu instid0(VALU_DEP_4) | instskip(SKIP_3) | instid1(VALU_DEP_4)
	v_mov_b32_e32 v2, v11
	v_add_co_u32 v33, vcc_lo, 0x5000, v255
	v_mov_b32_e32 v6, v14
	v_add_co_ci_u32_e32 v34, vcc_lo, 0, v192, vcc_lo
	v_lshlrev_b64 v[1:2], 4, v[1:2]
	v_add_co_u32 v37, vcc_lo, 0x6000, v255
	v_add_co_ci_u32_e32 v38, vcc_lo, 0, v192, vcc_lo
	v_lshlrev_b64 v[3:4], 4, v[5:6]
	s_delay_alu instid0(VALU_DEP_4) | instskip(SKIP_2) | instid1(VALU_DEP_2)
	v_add_co_u32 v1, vcc_lo, s18, v1
	v_add_co_ci_u32_e32 v2, vcc_lo, s19, v2, vcc_lo
	s_add_i32 s3, s3, s2
	v_add_co_u32 v1, vcc_lo, v1, v3
	s_delay_alu instid0(VALU_DEP_2)
	v_add_co_ci_u32_e32 v2, vcc_lo, v2, v4, vcc_lo
	s_clause 0x1
	global_load_b128 v[97:100], v[7:8], off offset:544
	global_load_b128 v[93:96], v[7:8], off offset:3456
	v_add_co_u32 v5, vcc_lo, v1, s4
	v_add_co_ci_u32_e32 v6, vcc_lo, s3, v2, vcc_lo
	global_load_b128 v[101:104], v[9:10], off offset:2272
	v_add_co_u32 v9, vcc_lo, v5, s4
	v_add_co_ci_u32_e32 v10, vcc_lo, s3, v6, vcc_lo
	s_clause 0x1
	global_load_b128 v[109:112], v[12:13], off offset:1088
	global_load_b128 v[105:108], v[12:13], off offset:4000
	v_add_co_u32 v13, vcc_lo, v9, s4
	v_add_co_ci_u32_e32 v14, vcc_lo, s3, v10, vcc_lo
	s_clause 0x1
	global_load_b128 v[1:4], v[1:2], off
	global_load_b128 v[5:8], v[5:6], off
	v_add_co_u32 v17, vcc_lo, v13, s4
	v_add_co_ci_u32_e32 v18, vcc_lo, s3, v14, vcc_lo
	s_clause 0x1
	global_load_b128 v[9:12], v[9:10], off
	global_load_b128 v[13:16], v[13:14], off
	v_add_co_u32 v21, vcc_lo, v17, s4
	v_add_co_ci_u32_e32 v22, vcc_lo, s3, v18, vcc_lo
	global_load_b128 v[17:20], v[17:18], off
	v_add_co_u32 v25, vcc_lo, v21, s4
	v_add_co_ci_u32_e32 v26, vcc_lo, s3, v22, vcc_lo
	;; [unrolled: 3-line block ×4, first 2 shown]
	s_mov_b32 s8, 0x134454ff
	s_delay_alu instid0(VALU_DEP_2) | instskip(NEXT) | instid1(VALU_DEP_2)
	v_add_co_u32 v39, vcc_lo, v35, s4
	v_add_co_ci_u32_e32 v40, vcc_lo, s3, v36, vcc_lo
	global_load_b128 v[29:32], v[29:30], off
	global_load_b128 v[113:116], v[33:34], off offset:2816
	global_load_b128 v[33:36], v[35:36], off
	global_load_b128 v[117:120], v[37:38], off offset:1632
	global_load_b128 v[37:40], v[39:40], off
	s_load_b128 s[4:7], s[6:7], 0x0
	s_mov_b32 s9, 0x3fee6f0e
	s_mov_b32 s3, 0xbfee6f0e
	;; [unrolled: 1-line block ×9, first 2 shown]
	v_cmp_gt_u16_e32 vcc_lo, 0x8c, v0
	s_waitcnt vmcnt(19)
	scratch_store_b128 off, v[81:84], off offset:28 ; 16-byte Folded Spill
	s_waitcnt vmcnt(18)
	scratch_store_b128 off, v[85:88], off offset:44 ; 16-byte Folded Spill
	;; [unrolled: 2-line block ×8, first 2 shown]
	s_waitcnt vmcnt(11)
	v_mul_f64 v[41:42], v[3:4], v[83:84]
	v_mul_f64 v[43:44], v[1:2], v[83:84]
	s_waitcnt vmcnt(10)
	v_mul_f64 v[45:46], v[7:8], v[87:88]
	v_mul_f64 v[47:48], v[5:6], v[87:88]
	;; [unrolled: 3-line block ×10, first 2 shown]
	s_clause 0x1
	scratch_store_b128 off, v[113:116], off offset:156
	scratch_store_b128 off, v[117:120], off offset:172
	v_fma_f64 v[1:2], v[1:2], v[81:82], v[41:42]
	v_fma_f64 v[3:4], v[3:4], v[81:82], -v[43:44]
	v_fma_f64 v[5:6], v[5:6], v[85:86], v[45:46]
	v_fma_f64 v[7:8], v[7:8], v[85:86], -v[47:48]
	;; [unrolled: 2-line block ×10, first 2 shown]
	ds_store_b128 v212, v[1:4]
	ds_store_b128 v212, v[5:8] offset:2912
	ds_store_b128 v212, v[9:12] offset:5824
	;; [unrolled: 1-line block ×9, first 2 shown]
	s_waitcnt lgkmcnt(0)
	s_waitcnt_vscnt null, 0x0
	s_barrier
	buffer_gl0_inv
	ds_load_b128 v[1:4], v212 offset:8736
	ds_load_b128 v[5:8], v212 offset:14560
	;; [unrolled: 1-line block ×5, first 2 shown]
	s_waitcnt lgkmcnt(3)
	v_add_f64 v[65:66], v[1:2], -v[5:6]
	s_waitcnt lgkmcnt(2)
	v_add_f64 v[21:22], v[5:6], v[9:10]
	s_waitcnt lgkmcnt(1)
	v_add_f64 v[23:24], v[3:4], v[15:16]
	v_add_f64 v[25:26], v[1:2], v[13:14]
	;; [unrolled: 1-line block ×3, first 2 shown]
	v_add_f64 v[41:42], v[3:4], -v[15:16]
	v_add_f64 v[43:44], v[7:8], -v[11:12]
	;; [unrolled: 1-line block ×11, first 2 shown]
	s_waitcnt lgkmcnt(0)
	v_add_f64 v[1:2], v[17:18], v[1:2]
	v_add_f64 v[3:4], v[19:20], v[3:4]
	v_fma_f64 v[47:48], v[21:22], -0.5, v[17:18]
	v_fma_f64 v[49:50], v[23:24], -0.5, v[19:20]
	;; [unrolled: 1-line block ×4, first 2 shown]
	ds_load_b128 v[21:24], v212 offset:5824
	ds_load_b128 v[25:28], v212 offset:11648
	;; [unrolled: 1-line block ×4, first 2 shown]
	ds_load_b128 v[37:40], v212
	s_waitcnt lgkmcnt(0)
	s_barrier
	buffer_gl0_inv
	v_add_f64 v[1:2], v[1:2], v[5:6]
	v_add_f64 v[3:4], v[3:4], v[7:8]
	;; [unrolled: 1-line block ×7, first 2 shown]
	v_add_f64 v[91:92], v[23:24], -v[35:36]
	v_add_f64 v[93:94], v[27:28], -v[31:32]
	v_add_f64 v[95:96], v[39:40], v[23:24]
	v_add_f64 v[97:98], v[21:22], -v[33:34]
	v_add_f64 v[19:20], v[25:26], -v[29:30]
	v_fma_f64 v[79:80], v[41:42], s[8:9], v[47:48]
	v_fma_f64 v[81:82], v[45:46], s[8:9], v[49:50]
	;; [unrolled: 1-line block ×8, first 2 shown]
	v_add_f64 v[1:2], v[1:2], v[9:10]
	v_add_f64 v[3:4], v[3:4], v[11:12]
	v_fma_f64 v[17:18], v[57:58], -0.5, v[37:38]
	v_fma_f64 v[37:38], v[59:60], -0.5, v[37:38]
	;; [unrolled: 1-line block ×4, first 2 shown]
	v_add_f64 v[59:60], v[65:66], v[67:68]
	v_add_f64 v[61:62], v[69:70], v[71:72]
	;; [unrolled: 1-line block ×3, first 2 shown]
	v_add_f64 v[71:72], v[33:34], -v[29:30]
	v_add_f64 v[73:74], v[29:30], -v[33:34]
	;; [unrolled: 1-line block ×4, first 2 shown]
	v_add_f64 v[27:28], v[95:96], v[27:28]
	v_fma_f64 v[65:66], v[43:44], s[14:15], v[79:80]
	v_fma_f64 v[67:68], v[53:54], s[12:13], v[81:82]
	;; [unrolled: 1-line block ×4, first 2 shown]
	v_add_f64 v[47:48], v[77:78], v[85:86]
	v_fma_f64 v[41:42], v[41:42], s[14:15], v[51:52]
	v_fma_f64 v[49:50], v[53:54], s[14:15], v[49:50]
	;; [unrolled: 1-line block ×3, first 2 shown]
	v_add_f64 v[53:54], v[21:22], -v[25:26]
	v_add_f64 v[21:22], v[25:26], -v[21:22]
	;; [unrolled: 1-line block ×4, first 2 shown]
	v_add_f64 v[25:26], v[89:90], v[25:26]
	v_fma_f64 v[45:46], v[45:46], s[12:13], v[55:56]
                                        ; implicit-def: $vgpr88_vgpr89
	v_add_f64 v[1:2], v[1:2], v[13:14]
	v_add_f64 v[3:4], v[3:4], v[15:16]
	v_fma_f64 v[5:6], v[91:92], s[8:9], v[17:18]
	v_fma_f64 v[7:8], v[91:92], s[2:3], v[17:18]
	;; [unrolled: 1-line block ×8, first 2 shown]
	v_add_f64 v[27:28], v[27:28], v[31:32]
	v_fma_f64 v[55:56], v[59:60], s[16:17], v[65:66]
	v_fma_f64 v[65:66], v[63:64], s[16:17], v[67:68]
	;; [unrolled: 1-line block ×7, first 2 shown]
	v_add_f64 v[53:54], v[53:54], v[71:72]
	v_add_f64 v[21:22], v[21:22], v[73:74]
	;; [unrolled: 1-line block ×5, first 2 shown]
	v_fma_f64 v[5:6], v[93:94], s[14:15], v[5:6]
	v_fma_f64 v[7:8], v[93:94], s[12:13], v[7:8]
	;; [unrolled: 1-line block ×9, first 2 shown]
                                        ; implicit-def: $vgpr84_vgpr85
                                        ; implicit-def: $vgpr92_vgpr93
	v_add_f64 v[27:28], v[27:28], v[35:36]
	v_mul_f64 v[39:40], v[55:56], s[18:19]
	v_mul_f64 v[45:46], v[65:66], s[8:9]
	;; [unrolled: 1-line block ×8, first 2 shown]
	v_add_f64 v[25:26], v[25:26], v[33:34]
	v_fma_f64 v[5:6], v[53:54], s[16:17], v[5:6]
	v_fma_f64 v[7:8], v[53:54], s[16:17], v[7:8]
	;; [unrolled: 1-line block ×10, first 2 shown]
	v_fma_f64 v[29:30], v[49:50], s[8:9], -v[47:48]
	v_fma_f64 v[31:32], v[51:52], s[14:15], -v[57:58]
	v_fma_f64 v[33:34], v[37:38], s[18:19], v[55:56]
	v_fma_f64 v[35:36], v[65:66], s[16:17], v[61:62]
	v_fma_f64 v[37:38], v[67:68], s[2:3], -v[63:64]
	v_fma_f64 v[68:69], v[43:44], s[12:13], -v[69:70]
	v_add_f64 v[42:43], v[27:28], v[3:4]
	v_add_f64 v[58:59], v[27:28], -v[3:4]
	s_load_b64 s[2:3], s[0:1], 0x38
	v_add_f64 v[40:41], v[25:26], v[1:2]
	v_add_f64 v[56:57], v[25:26], -v[1:2]
	v_mul_lo_u16 v1, v0, 10
	s_delay_alu instid0(VALU_DEP_1)
	v_and_b32_e32 v1, 0xffff, v1
	v_add_f64 v[80:81], v[5:6], v[21:22]
	v_add_f64 v[64:65], v[9:10], v[23:24]
	;; [unrolled: 1-line block ×8, first 2 shown]
	v_add_f64 v[44:45], v[5:6], -v[21:22]
	v_add_f64 v[48:49], v[9:10], -v[23:24]
	;; [unrolled: 1-line block ×8, first 2 shown]
	v_lshlrev_b32_e32 v16, 4, v1
	ds_store_b128 v16, v[40:43]
	ds_store_b128 v16, v[80:83] offset:16
	ds_store_b128 v16, v[64:67] offset:32
	ds_store_b128 v16, v[76:79] offset:48
	ds_store_b128 v16, v[60:63] offset:64
	ds_store_b128 v16, v[56:59] offset:80
	ds_store_b128 v16, v[44:47] offset:96
	ds_store_b128 v16, v[48:51] offset:112
	ds_store_b128 v16, v[52:55] offset:128
	ds_store_b128 v16, v[72:75] offset:144
	s_waitcnt lgkmcnt(0)
	s_barrier
	buffer_gl0_inv
	s_and_saveexec_b32 s0, vcc_lo
	s_cbranch_execz .LBB0_3
; %bb.2:
	ds_load_b128 v[40:43], v212
	ds_load_b128 v[80:83], v212 offset:2240
	ds_load_b128 v[64:67], v212 offset:4480
	;; [unrolled: 1-line block ×12, first 2 shown]
.LBB0_3:
	s_or_b32 exec_lo, exec_lo, s0
	scratch_load_b32 v1, off, off           ; 4-byte Folded Reload
	s_mov_b32 s21, 0xbfddbe06
	s_mov_b32 s20, 0x4267c47c
	;; [unrolled: 1-line block ×30, first 2 shown]
	s_waitcnt vmcnt(0)
	v_and_b32_e32 v0, 0xff, v1
	s_delay_alu instid0(VALU_DEP_1) | instskip(NEXT) | instid1(VALU_DEP_1)
	v_mul_lo_u16 v0, 0xcd, v0
	v_lshrrev_b16 v17, 11, v0
	s_delay_alu instid0(VALU_DEP_1) | instskip(SKIP_1) | instid1(VALU_DEP_2)
	v_mul_lo_u16 v0, v17, 10
	v_and_b32_e32 v17, 0xffff, v17
	v_sub_nc_u16 v0, v1, v0
	s_delay_alu instid0(VALU_DEP_1) | instskip(SKIP_2) | instid1(VALU_DEP_1)
	v_and_b32_e32 v0, 0xff, v0
	scratch_store_b32 off, v0, off offset:188 ; 4-byte Folded Spill
	v_mul_u32_u24_e32 v0, 12, v0
	v_lshlrev_b32_e32 v2, 4, v0
	s_clause 0x3
	global_load_b128 v[68:71], v2, s[10:11]
	global_load_b128 v[100:103], v2, s[10:11] offset:16
	global_load_b128 v[124:127], v2, s[10:11] offset:176
	;; [unrolled: 1-line block ×3, first 2 shown]
	s_waitcnt vmcnt(3) lgkmcnt(11)
	v_mul_f64 v[0:1], v[82:83], v[70:71]
	s_delay_alu instid0(VALU_DEP_1) | instskip(SKIP_1) | instid1(VALU_DEP_1)
	v_fma_f64 v[162:163], v[80:81], v[68:69], -v[0:1]
	v_mul_f64 v[0:1], v[80:81], v[70:71]
	v_fma_f64 v[164:165], v[82:83], v[68:69], v[0:1]
	s_waitcnt vmcnt(1) lgkmcnt(0)
	v_mul_f64 v[0:1], v[92:93], v[126:127]
	s_delay_alu instid0(VALU_DEP_1) | instskip(SKIP_1) | instid1(VALU_DEP_2)
	v_fma_f64 v[4:5], v[94:95], v[124:125], v[0:1]
	v_mul_f64 v[0:1], v[94:95], v[126:127]
	v_add_f64 v[225:226], v[164:165], v[4:5]
	s_delay_alu instid0(VALU_DEP_2) | instskip(SKIP_1) | instid1(VALU_DEP_2)
	v_fma_f64 v[6:7], v[92:93], v[124:125], -v[0:1]
	v_mul_f64 v[0:1], v[66:67], v[102:103]
	v_add_f64 v[206:207], v[162:163], v[6:7]
	s_delay_alu instid0(VALU_DEP_2) | instskip(SKIP_2) | instid1(VALU_DEP_2)
	v_fma_f64 v[12:13], v[64:65], v[100:101], -v[0:1]
	v_mul_f64 v[0:1], v[64:65], v[102:103]
	v_add_f64 v[108:109], v[162:163], -v[6:7]
	v_fma_f64 v[14:15], v[66:67], v[100:101], v[0:1]
	s_waitcnt vmcnt(0)
	v_mul_f64 v[0:1], v[84:85], v[106:107]
	s_clause 0x1
	global_load_b128 v[80:83], v2, s[10:11] offset:32
	global_load_b128 v[64:67], v2, s[10:11] offset:48
	v_mul_f64 v[221:222], v[108:109], s[20:21]
	v_mul_f64 v[118:119], v[108:109], s[26:27]
	;; [unrolled: 1-line block ×3, first 2 shown]
	v_fma_f64 v[8:9], v[86:87], v[104:105], v[0:1]
	v_mul_f64 v[0:1], v[86:87], v[106:107]
	s_delay_alu instid0(VALU_DEP_2) | instskip(NEXT) | instid1(VALU_DEP_2)
	v_add_f64 v[170:171], v[14:15], v[8:9]
	v_fma_f64 v[10:11], v[84:85], v[104:105], -v[0:1]
	s_clause 0x1
	global_load_b128 v[84:87], v2, s[10:11] offset:144
	global_load_b128 v[92:95], v2, s[10:11] offset:128
	v_add_f64 v[166:167], v[12:13], v[10:11]
	v_add_f64 v[110:111], v[12:13], -v[10:11]
	s_delay_alu instid0(VALU_DEP_1) | instskip(SKIP_1) | instid1(VALU_DEP_2)
	v_mul_f64 v[215:216], v[110:111], s[36:37]
	v_mul_f64 v[243:244], v[110:111], s[34:35]
	v_fma_f64 v[128:129], v[170:171], s[16:17], -v[215:216]
	s_delay_alu instid0(VALU_DEP_2) | instskip(SKIP_2) | instid1(VALU_DEP_1)
	v_fma_f64 v[158:159], v[170:171], s[12:13], -v[243:244]
	s_waitcnt vmcnt(3)
	v_mul_f64 v[0:1], v[78:79], v[82:83]
	v_fma_f64 v[18:19], v[76:77], v[80:81], -v[0:1]
	v_mul_f64 v[0:1], v[76:77], v[82:83]
	s_delay_alu instid0(VALU_DEP_1) | instskip(SKIP_2) | instid1(VALU_DEP_1)
	v_fma_f64 v[20:21], v[78:79], v[80:81], v[0:1]
	s_waitcnt vmcnt(1)
	v_mul_f64 v[0:1], v[90:91], v[86:87]
	v_fma_f64 v[22:23], v[88:89], v[84:85], -v[0:1]
	v_mul_f64 v[0:1], v[88:89], v[86:87]
	s_delay_alu instid0(VALU_DEP_2) | instskip(NEXT) | instid1(VALU_DEP_2)
	v_add_f64 v[174:175], v[18:19], v[22:23]
	v_fma_f64 v[24:25], v[90:91], v[84:85], v[0:1]
	v_mul_f64 v[0:1], v[62:63], v[66:67]
	v_add_f64 v[114:115], v[18:19], -v[22:23]
	s_delay_alu instid0(VALU_DEP_3) | instskip(NEXT) | instid1(VALU_DEP_3)
	v_add_f64 v[112:113], v[20:21], -v[24:25]
	v_fma_f64 v[30:31], v[60:61], v[64:65], -v[0:1]
	v_mul_f64 v[0:1], v[60:61], v[66:67]
	v_add_f64 v[60:61], v[164:165], -v[4:5]
	v_add_f64 v[178:179], v[20:21], v[24:25]
	v_mul_f64 v[245:246], v[114:115], s[22:23]
	v_mul_f64 v[184:185], v[114:115], s[28:29]
	;; [unrolled: 1-line block ×3, first 2 shown]
	v_fma_f64 v[32:33], v[62:63], v[64:65], v[0:1]
	s_waitcnt vmcnt(0)
	v_mul_f64 v[0:1], v[74:75], v[94:95]
	v_mul_f64 v[204:205], v[60:61], s[20:21]
	v_add_f64 v[62:63], v[14:15], -v[8:9]
	v_mul_f64 v[253:254], v[60:61], s[22:23]
	s_mov_b32 s21, 0x3fddbe06
	v_mul_f64 v[116:117], v[60:61], s[26:27]
	v_mul_f64 v[223:224], v[114:115], s[20:21]
	;; [unrolled: 1-line block ×3, first 2 shown]
	v_fma_f64 v[26:27], v[72:73], v[92:93], -v[0:1]
	v_mul_f64 v[0:1], v[72:73], v[94:95]
	v_mul_f64 v[134:135], v[62:63], s[30:31]
	v_mul_f64 v[227:228], v[62:63], s[34:35]
	v_mul_f64 v[180:181], v[62:63], s[20:21]
	v_add_f64 v[182:183], v[30:31], v[26:27]
	v_fma_f64 v[28:29], v[74:75], v[92:93], v[0:1]
	s_clause 0x3
	global_load_b128 v[76:79], v2, s[10:11] offset:64
	global_load_b128 v[72:75], v2, s[10:11] offset:80
	;; [unrolled: 1-line block ×4, first 2 shown]
	v_mul_f64 v[2:3], v[62:63], s[22:23]
	v_add_f64 v[138:139], v[30:31], -v[26:27]
	s_clause 0x1
	scratch_store_b64 off, v[6:7], off offset:196
	scratch_store_b64 off, v[4:5], off offset:4
	v_mul_f64 v[4:5], v[110:111], s[22:23]
	v_add_f64 v[136:137], v[32:33], -v[28:29]
	v_add_f64 v[190:191], v[32:33], v[28:29]
	scratch_store_b64 off, v[2:3], off offset:308 ; 8-byte Folded Spill
	v_fma_f64 v[2:3], v[166:167], s[0:1], v[2:3]
	s_clause 0x3
	scratch_store_b64 off, v[10:11], off offset:212
	scratch_store_b64 off, v[12:13], off offset:220
	;; [unrolled: 1-line block ×4, first 2 shown]
	v_mul_f64 v[36:37], v[138:139], s[20:21]
	v_mul_f64 v[229:230], v[138:139], s[26:27]
	scratch_store_b64 off, v[4:5], off offset:316 ; 8-byte Folded Spill
	v_fma_f64 v[4:5], v[170:171], s[0:1], -v[4:5]
	v_mul_f64 v[213:214], v[136:137], s[26:27]
	s_waitcnt vmcnt(3)
	v_mul_f64 v[0:1], v[58:59], v[78:79]
	s_delay_alu instid0(VALU_DEP_1) | instskip(SKIP_1) | instid1(VALU_DEP_1)
	v_fma_f64 v[34:35], v[56:57], v[76:77], -v[0:1]
	v_mul_f64 v[0:1], v[56:57], v[78:79]
	v_fma_f64 v[56:57], v[58:59], v[76:77], v[0:1]
	s_waitcnt vmcnt(1)
	v_mul_f64 v[0:1], v[54:55], v[98:99]
	s_delay_alu instid0(VALU_DEP_1) | instskip(SKIP_1) | instid1(VALU_DEP_2)
	v_fma_f64 v[58:59], v[52:53], v[96:97], -v[0:1]
	v_mul_f64 v[0:1], v[52:53], v[98:99]
	v_add_f64 v[186:187], v[34:35], v[58:59]
	s_delay_alu instid0(VALU_DEP_2) | instskip(SKIP_2) | instid1(VALU_DEP_3)
	v_fma_f64 v[52:53], v[54:55], v[96:97], v[0:1]
	v_mul_f64 v[0:1], v[46:47], v[74:75]
	v_add_f64 v[196:197], v[34:35], -v[58:59]
	v_add_f64 v[132:133], v[56:57], -v[52:53]
	s_delay_alu instid0(VALU_DEP_3)
	v_fma_f64 v[54:55], v[44:45], v[72:73], -v[0:1]
	v_mul_f64 v[0:1], v[44:45], v[74:75]
	v_add_f64 v[198:199], v[56:57], v[52:53]
	v_mul_f64 v[208:209], v[196:197], s[22:23]
	v_mul_f64 v[251:252], v[196:197], s[20:21]
	;; [unrolled: 1-line block ×3, first 2 shown]
	v_fma_f64 v[46:47], v[46:47], v[72:73], v[0:1]
	s_waitcnt vmcnt(0)
	v_mul_f64 v[0:1], v[50:51], v[90:91]
	s_delay_alu instid0(VALU_DEP_1) | instskip(SKIP_1) | instid1(VALU_DEP_2)
	v_fma_f64 v[44:45], v[48:49], v[88:89], -v[0:1]
	v_mul_f64 v[0:1], v[48:49], v[90:91]
	v_add_f64 v[194:195], v[54:55], v[44:45]
	s_delay_alu instid0(VALU_DEP_2) | instskip(SKIP_3) | instid1(VALU_DEP_4)
	v_fma_f64 v[48:49], v[50:51], v[88:89], v[0:1]
	v_fma_f64 v[0:1], v[206:207], s[8:9], v[204:205]
	v_add_f64 v[160:161], v[54:55], -v[44:45]
	v_mul_f64 v[50:51], v[108:109], s[22:23]
	v_add_f64 v[200:201], v[46:47], -v[48:49]
	s_delay_alu instid0(VALU_DEP_4)
	v_add_f64 v[0:1], v[40:41], v[0:1]
	v_add_f64 v[202:203], v[46:47], v[48:49]
	v_mul_f64 v[210:211], v[160:161], s[28:29]
	v_mul_f64 v[249:250], v[160:161], s[24:25]
	;; [unrolled: 1-line block ×3, first 2 shown]
	v_add_f64 v[0:1], v[2:3], v[0:1]
	v_fma_f64 v[2:3], v[225:226], s[8:9], -v[221:222]
	s_delay_alu instid0(VALU_DEP_1) | instskip(NEXT) | instid1(VALU_DEP_1)
	v_add_f64 v[2:3], v[42:43], v[2:3]
	v_add_f64 v[2:3], v[4:5], v[2:3]
	v_mul_f64 v[4:5], v[112:113], s[26:27]
	scratch_store_b64 off, v[4:5], off offset:324 ; 8-byte Folded Spill
	v_fma_f64 v[4:5], v[174:175], s[12:13], v[4:5]
	s_clause 0x3
	scratch_store_b64 off, v[18:19], off offset:236
	scratch_store_b64 off, v[22:23], off offset:252
	scratch_store_b64 off, v[20:21], off offset:244
	scratch_store_b64 off, v[24:25], off offset:260
	v_add_f64 v[0:1], v[4:5], v[0:1]
	v_mul_f64 v[4:5], v[114:115], s[26:27]
	s_mov_b32 s27, 0x3fcea1e5
	s_mov_b32 s26, s30
	s_delay_alu instid0(SALU_CYCLE_1)
	v_mul_f64 v[217:218], v[132:133], s[26:27]
	v_mul_f64 v[233:234], v[196:197], s[26:27]
	v_mul_f64 v[239:240], v[136:137], s[26:27]
	v_mul_f64 v[247:248], v[138:139], s[26:27]
	scratch_store_b64 off, v[4:5], off offset:332 ; 8-byte Folded Spill
	v_fma_f64 v[4:5], v[178:179], s[12:13], -v[4:5]
	s_delay_alu instid0(VALU_DEP_1)
	v_add_f64 v[2:3], v[4:5], v[2:3]
	v_mul_f64 v[4:5], v[136:137], s[24:25]
	scratch_store_b64 off, v[4:5], off offset:340 ; 8-byte Folded Spill
	v_fma_f64 v[4:5], v[182:183], s[14:15], v[4:5]
	s_clause 0x5
	scratch_store_b64 off, v[26:27], off offset:268
	scratch_store_b64 off, v[30:31], off offset:284
	;; [unrolled: 1-line block ×5, first 2 shown]
	scratch_store_b32 off, v17, off offset:192
	v_add_f64 v[0:1], v[4:5], v[0:1]
	v_mul_f64 v[4:5], v[138:139], s[24:25]
	scratch_store_b64 off, v[4:5], off offset:356 ; 8-byte Folded Spill
	v_fma_f64 v[4:5], v[190:191], s[14:15], -v[4:5]
	s_delay_alu instid0(VALU_DEP_1) | instskip(SKIP_3) | instid1(VALU_DEP_1)
	v_add_f64 v[2:3], v[4:5], v[2:3]
	v_mul_f64 v[4:5], v[132:133], s[28:29]
	scratch_store_b64 off, v[4:5], off offset:348 ; 8-byte Folded Spill
	v_fma_f64 v[4:5], v[186:187], s[16:17], v[4:5]
	v_add_f64 v[0:1], v[4:5], v[0:1]
	v_mul_f64 v[4:5], v[196:197], s[28:29]
	scratch_store_b64 off, v[4:5], off offset:372 ; 8-byte Folded Spill
	v_fma_f64 v[4:5], v[198:199], s[16:17], -v[4:5]
	s_delay_alu instid0(VALU_DEP_1) | instskip(SKIP_3) | instid1(VALU_DEP_1)
	v_add_f64 v[2:3], v[4:5], v[2:3]
	v_mul_f64 v[4:5], v[200:201], s[30:31]
	scratch_store_b64 off, v[4:5], off offset:364 ; 8-byte Folded Spill
	v_fma_f64 v[4:5], v[194:195], s[18:19], v[4:5]
	v_add_f64 v[140:141], v[4:5], v[0:1]
	v_mul_f64 v[0:1], v[160:161], s[30:31]
	scratch_store_b64 off, v[0:1], off offset:380 ; 8-byte Folded Spill
	v_fma_f64 v[0:1], v[202:203], s[18:19], -v[0:1]
	s_waitcnt_vscnt null, 0x0
	s_barrier
	buffer_gl0_inv
	v_add_f64 v[142:143], v[0:1], v[2:3]
	v_fma_f64 v[0:1], v[206:207], s[0:1], v[253:254]
	s_delay_alu instid0(VALU_DEP_1) | instskip(SKIP_1) | instid1(VALU_DEP_1)
	v_add_f64 v[2:3], v[40:41], v[0:1]
	v_mul_f64 v[0:1], v[62:63], s[24:25]
	v_fma_f64 v[4:5], v[166:167], s[14:15], v[0:1]
	s_delay_alu instid0(VALU_DEP_1) | instskip(SKIP_2) | instid1(VALU_DEP_2)
	v_add_f64 v[6:7], v[4:5], v[2:3]
	v_fma_f64 v[2:3], v[225:226], s[0:1], -v[50:51]
	v_mul_f64 v[4:5], v[110:111], s[24:25]
	v_add_f64 v[2:3], v[42:43], v[2:3]
	s_delay_alu instid0(VALU_DEP_2) | instskip(NEXT) | instid1(VALU_DEP_1)
	v_fma_f64 v[8:9], v[170:171], s[14:15], -v[4:5]
	v_add_f64 v[10:11], v[8:9], v[2:3]
	v_mul_f64 v[2:3], v[112:113], s[30:31]
	s_delay_alu instid0(VALU_DEP_1) | instskip(NEXT) | instid1(VALU_DEP_1)
	v_fma_f64 v[8:9], v[174:175], s[18:19], v[2:3]
	v_add_f64 v[12:13], v[8:9], v[6:7]
	v_mul_f64 v[8:9], v[114:115], s[30:31]
	s_delay_alu instid0(VALU_DEP_1) | instskip(NEXT) | instid1(VALU_DEP_1)
	v_fma_f64 v[6:7], v[178:179], s[18:19], -v[8:9]
	v_add_f64 v[10:11], v[6:7], v[10:11]
	v_mul_f64 v[6:7], v[136:137], s[36:37]
	s_delay_alu instid0(VALU_DEP_1) | instskip(NEXT) | instid1(VALU_DEP_1)
	v_fma_f64 v[14:15], v[182:183], s[16:17], v[6:7]
	v_add_f64 v[14:15], v[14:15], v[12:13]
	v_mul_f64 v[12:13], v[138:139], s[36:37]
	s_delay_alu instid0(VALU_DEP_1) | instskip(NEXT) | instid1(VALU_DEP_1)
	v_fma_f64 v[18:19], v[190:191], s[16:17], -v[12:13]
	v_add_f64 v[20:21], v[18:19], v[10:11]
	v_mul_f64 v[10:11], v[132:133], s[34:35]
	s_delay_alu instid0(VALU_DEP_1) | instskip(NEXT) | instid1(VALU_DEP_1)
	v_fma_f64 v[18:19], v[186:187], s[12:13], v[10:11]
	v_add_f64 v[22:23], v[18:19], v[14:15]
	v_mul_f64 v[18:19], v[196:197], s[34:35]
	s_delay_alu instid0(VALU_DEP_1) | instskip(NEXT) | instid1(VALU_DEP_1)
	v_fma_f64 v[14:15], v[198:199], s[12:13], -v[18:19]
	v_add_f64 v[20:21], v[14:15], v[20:21]
	v_mul_f64 v[14:15], v[200:201], s[20:21]
	s_delay_alu instid0(VALU_DEP_1) | instskip(NEXT) | instid1(VALU_DEP_1)
	v_fma_f64 v[24:25], v[194:195], s[8:9], v[14:15]
	v_add_f64 v[144:145], v[24:25], v[22:23]
	v_mul_f64 v[24:25], v[160:161], s[20:21]
	s_delay_alu instid0(VALU_DEP_1) | instskip(NEXT) | instid1(VALU_DEP_1)
	v_fma_f64 v[22:23], v[202:203], s[8:9], -v[24:25]
	v_add_f64 v[146:147], v[22:23], v[20:21]
	v_fma_f64 v[20:21], v[206:207], s[12:13], v[116:117]
	v_fma_f64 v[22:23], v[166:167], s[18:19], v[134:135]
	s_delay_alu instid0(VALU_DEP_2) | instskip(NEXT) | instid1(VALU_DEP_1)
	v_add_f64 v[20:21], v[40:41], v[20:21]
	v_add_f64 v[26:27], v[22:23], v[20:21]
	v_fma_f64 v[20:21], v[225:226], s[12:13], -v[118:119]
	v_mul_f64 v[22:23], v[110:111], s[30:31]
	v_fma_f64 v[110:111], v[170:171], s[8:9], -v[188:189]
	s_delay_alu instid0(VALU_DEP_3) | instskip(NEXT) | instid1(VALU_DEP_3)
	v_add_f64 v[20:21], v[42:43], v[20:21]
	v_fma_f64 v[28:29], v[170:171], s[18:19], -v[22:23]
	s_delay_alu instid0(VALU_DEP_1) | instskip(SKIP_1) | instid1(VALU_DEP_1)
	v_add_f64 v[30:31], v[28:29], v[20:21]
	v_mul_f64 v[20:21], v[112:113], s[38:39]
	v_fma_f64 v[28:29], v[174:175], s[14:15], v[20:21]
	s_delay_alu instid0(VALU_DEP_1) | instskip(SKIP_1) | instid1(VALU_DEP_1)
	v_add_f64 v[32:33], v[28:29], v[26:27]
	v_mul_f64 v[28:29], v[114:115], s[38:39]
	v_fma_f64 v[26:27], v[178:179], s[14:15], -v[28:29]
	s_delay_alu instid0(VALU_DEP_1) | instskip(SKIP_1) | instid1(VALU_DEP_1)
	v_add_f64 v[30:31], v[26:27], v[30:31]
	v_mul_f64 v[26:27], v[136:137], s[20:21]
	v_fma_f64 v[34:35], v[182:183], s[8:9], v[26:27]
	s_delay_alu instid0(VALU_DEP_1) | instskip(SKIP_1) | instid1(VALU_DEP_1)
	v_add_f64 v[32:33], v[34:35], v[32:33]
	v_fma_f64 v[34:35], v[190:191], s[8:9], -v[36:37]
	v_add_f64 v[34:35], v[34:35], v[30:31]
	v_mul_f64 v[30:31], v[132:133], s[22:23]
	s_delay_alu instid0(VALU_DEP_1) | instskip(NEXT) | instid1(VALU_DEP_1)
	v_fma_f64 v[38:39], v[186:187], s[0:1], v[30:31]
	v_add_f64 v[38:39], v[38:39], v[32:33]
	v_fma_f64 v[32:33], v[198:199], s[0:1], -v[208:209]
	s_delay_alu instid0(VALU_DEP_1) | instskip(SKIP_1) | instid1(VALU_DEP_1)
	v_add_f64 v[34:35], v[32:33], v[34:35]
	v_mul_f64 v[32:33], v[200:201], s[28:29]
	v_fma_f64 v[120:121], v[194:195], s[16:17], v[32:33]
	s_delay_alu instid0(VALU_DEP_1) | instskip(SKIP_2) | instid1(VALU_DEP_2)
	v_add_f64 v[148:149], v[120:121], v[38:39]
	v_fma_f64 v[38:39], v[202:203], s[16:17], -v[210:211]
	v_mul_f64 v[120:121], v[60:61], s[24:25]
	v_add_f64 v[150:151], v[38:39], v[34:35]
	s_delay_alu instid0(VALU_DEP_2) | instskip(NEXT) | instid1(VALU_DEP_1)
	v_fma_f64 v[34:35], v[206:207], s[14:15], v[120:121]
	v_add_f64 v[38:39], v[40:41], v[34:35]
	v_mul_f64 v[34:35], v[62:63], s[36:37]
	s_mov_b32 s37, 0x3fea55e2
	s_mov_b32 s36, s22
	s_delay_alu instid0(SALU_CYCLE_1) | instskip(SKIP_2) | instid1(VALU_DEP_4)
	v_mul_f64 v[219:220], v[200:201], s[36:37]
	v_mul_f64 v[237:238], v[160:161], s[36:37]
	v_mul_f64 v[172:173], v[138:139], s[36:37]
	v_fma_f64 v[122:123], v[166:167], s[16:17], v[34:35]
	s_delay_alu instid0(VALU_DEP_1) | instskip(SKIP_1) | instid1(VALU_DEP_1)
	v_add_f64 v[122:123], v[122:123], v[38:39]
	v_fma_f64 v[38:39], v[225:226], s[14:15], -v[176:177]
	v_add_f64 v[38:39], v[42:43], v[38:39]
	s_delay_alu instid0(VALU_DEP_1) | instskip(SKIP_1) | instid1(VALU_DEP_1)
	v_add_f64 v[128:129], v[128:129], v[38:39]
	v_mul_f64 v[38:39], v[112:113], s[20:21]
	v_fma_f64 v[130:131], v[174:175], s[8:9], v[38:39]
	s_delay_alu instid0(VALU_DEP_1) | instskip(SKIP_1) | instid1(VALU_DEP_1)
	v_add_f64 v[122:123], v[130:131], v[122:123]
	v_fma_f64 v[130:131], v[178:179], s[8:9], -v[223:224]
	v_add_f64 v[128:129], v[130:131], v[128:129]
	v_fma_f64 v[130:131], v[182:183], s[12:13], v[213:214]
	s_delay_alu instid0(VALU_DEP_1) | instskip(SKIP_1) | instid1(VALU_DEP_1)
	v_add_f64 v[122:123], v[130:131], v[122:123]
	v_fma_f64 v[130:131], v[190:191], s[12:13], -v[229:230]
	v_add_f64 v[128:129], v[130:131], v[128:129]
	;; [unrolled: 5-line block ×3, first 2 shown]
	v_fma_f64 v[130:131], v[194:195], s[0:1], v[219:220]
	s_delay_alu instid0(VALU_DEP_1) | instskip(SKIP_2) | instid1(VALU_DEP_2)
	v_add_f64 v[152:153], v[130:131], v[122:123]
	v_fma_f64 v[122:123], v[202:203], s[0:1], -v[237:238]
	v_fma_f64 v[130:131], v[166:167], s[12:13], v[227:228]
	v_add_f64 v[154:155], v[122:123], v[128:129]
	v_mul_f64 v[128:129], v[60:61], s[28:29]
	v_mul_f64 v[60:61], v[60:61], s[30:31]
	s_delay_alu instid0(VALU_DEP_2) | instskip(NEXT) | instid1(VALU_DEP_2)
	v_fma_f64 v[122:123], v[206:207], s[16:17], v[128:129]
	v_fma_f64 v[62:63], v[206:207], s[18:19], v[60:61]
	s_delay_alu instid0(VALU_DEP_2) | instskip(NEXT) | instid1(VALU_DEP_2)
	v_add_f64 v[122:123], v[40:41], v[122:123]
	v_add_f64 v[62:63], v[40:41], v[62:63]
	s_delay_alu instid0(VALU_DEP_2) | instskip(SKIP_1) | instid1(VALU_DEP_1)
	v_add_f64 v[122:123], v[130:131], v[122:123]
	v_mul_f64 v[130:131], v[108:109], s[28:29]
	v_fma_f64 v[156:157], v[225:226], s[16:17], -v[130:131]
	s_delay_alu instid0(VALU_DEP_1) | instskip(NEXT) | instid1(VALU_DEP_1)
	v_add_f64 v[156:157], v[42:43], v[156:157]
	v_add_f64 v[156:157], v[158:159], v[156:157]
	v_fma_f64 v[158:159], v[174:175], s[0:1], v[231:232]
	s_delay_alu instid0(VALU_DEP_1) | instskip(SKIP_1) | instid1(VALU_DEP_1)
	v_add_f64 v[122:123], v[158:159], v[122:123]
	v_fma_f64 v[158:159], v[178:179], s[0:1], -v[245:246]
	v_add_f64 v[156:157], v[158:159], v[156:157]
	v_fma_f64 v[158:159], v[182:183], s[18:19], v[239:240]
	s_delay_alu instid0(VALU_DEP_1) | instskip(SKIP_1) | instid1(VALU_DEP_1)
	v_add_f64 v[122:123], v[158:159], v[122:123]
	v_fma_f64 v[158:159], v[190:191], s[18:19], -v[247:248]
	;; [unrolled: 5-line block ×4, first 2 shown]
	v_add_f64 v[158:159], v[122:123], v[158:159]
	v_fma_f64 v[122:123], v[166:167], s[8:9], v[180:181]
	s_delay_alu instid0(VALU_DEP_1) | instskip(SKIP_3) | instid1(VALU_DEP_3)
	v_add_f64 v[168:169], v[122:123], v[62:63]
	v_mul_f64 v[62:63], v[108:109], s[30:31]
	v_mul_f64 v[122:123], v[112:113], s[28:29]
	v_fma_f64 v[112:113], v[178:179], s[16:17], -v[184:185]
	v_fma_f64 v[108:109], v[225:226], s[18:19], -v[62:63]
	s_delay_alu instid0(VALU_DEP_1) | instskip(NEXT) | instid1(VALU_DEP_1)
	v_add_f64 v[108:109], v[42:43], v[108:109]
	v_add_f64 v[108:109], v[110:111], v[108:109]
	v_fma_f64 v[110:111], v[174:175], s[16:17], v[122:123]
	s_delay_alu instid0(VALU_DEP_2) | instskip(NEXT) | instid1(VALU_DEP_2)
	v_add_f64 v[108:109], v[112:113], v[108:109]
	v_add_f64 v[110:111], v[110:111], v[168:169]
	v_mul_f64 v[168:169], v[136:137], s[36:37]
	s_delay_alu instid0(VALU_DEP_1) | instskip(NEXT) | instid1(VALU_DEP_1)
	v_fma_f64 v[112:113], v[182:183], s[0:1], v[168:169]
	v_add_f64 v[110:111], v[112:113], v[110:111]
	v_fma_f64 v[112:113], v[190:191], s[0:1], -v[172:173]
	s_delay_alu instid0(VALU_DEP_1) | instskip(SKIP_1) | instid1(VALU_DEP_1)
	v_add_f64 v[108:109], v[112:113], v[108:109]
	v_mul_f64 v[112:113], v[132:133], s[24:25]
	v_fma_f64 v[114:115], v[186:187], s[14:15], v[112:113]
	s_delay_alu instid0(VALU_DEP_1) | instskip(SKIP_1) | instid1(VALU_DEP_1)
	v_add_f64 v[132:133], v[114:115], v[110:111]
	v_mul_f64 v[114:115], v[196:197], s[24:25]
	v_fma_f64 v[110:111], v[198:199], s[14:15], -v[114:115]
	s_delay_alu instid0(VALU_DEP_1) | instskip(SKIP_2) | instid1(VALU_DEP_2)
	v_add_f64 v[138:139], v[110:111], v[108:109]
	v_mul_f64 v[108:109], v[200:201], s[34:35]
	v_mul_f64 v[110:111], v[160:161], s[34:35]
	v_fma_f64 v[136:137], v[194:195], s[12:13], v[108:109]
	s_delay_alu instid0(VALU_DEP_1) | instskip(NEXT) | instid1(VALU_DEP_3)
	v_add_f64 v[136:137], v[136:137], v[132:133]
	v_fma_f64 v[132:133], v[202:203], s[12:13], -v[110:111]
	s_delay_alu instid0(VALU_DEP_1)
	v_add_f64 v[138:139], v[132:133], v[138:139]
	s_and_saveexec_b32 s20, vcc_lo
	s_cbranch_execz .LBB0_5
; %bb.4:
	v_mul_f64 v[132:133], v[225:226], s[18:19]
	v_mul_f64 v[160:161], v[206:207], s[14:15]
	;; [unrolled: 1-line block ×3, first 2 shown]
	v_add_f64 v[164:165], v[42:43], v[164:165]
	v_add_f64 v[162:163], v[40:41], v[162:163]
	;; [unrolled: 1-line block ×3, first 2 shown]
	v_mul_f64 v[132:133], v[206:207], s[18:19]
	v_add_f64 v[120:121], v[160:161], -v[120:121]
	v_mul_f64 v[160:161], v[225:226], s[12:13]
	v_add_f64 v[196:197], v[196:197], -v[204:205]
	v_add_f64 v[62:63], v[42:43], v[62:63]
	v_add_f64 v[60:61], v[132:133], -v[60:61]
	v_mul_f64 v[132:133], v[225:226], s[16:17]
	v_add_f64 v[118:119], v[118:119], v[160:161]
	v_mul_f64 v[160:161], v[206:207], s[12:13]
	v_add_f64 v[120:121], v[40:41], v[120:121]
	v_add_f64 v[196:197], v[40:41], v[196:197]
	;; [unrolled: 1-line block ×4, first 2 shown]
	v_mul_f64 v[132:133], v[225:226], s[14:15]
	v_add_f64 v[116:117], v[160:161], -v[116:117]
	v_mul_f64 v[160:161], v[225:226], s[0:1]
	v_add_f64 v[118:119], v[42:43], v[118:119]
	v_add_f64 v[130:131], v[42:43], v[130:131]
	;; [unrolled: 1-line block ×3, first 2 shown]
	v_mul_f64 v[176:177], v[206:207], s[16:17]
	v_add_f64 v[50:51], v[50:51], v[160:161]
	v_mul_f64 v[160:161], v[206:207], s[0:1]
	v_add_f64 v[116:117], v[40:41], v[116:117]
	v_add_f64 v[132:133], v[42:43], v[132:133]
	v_add_f64 v[128:129], v[176:177], -v[128:129]
	v_mul_f64 v[176:177], v[225:226], s[8:9]
	v_add_f64 v[50:51], v[42:43], v[50:51]
	v_add_f64 v[160:161], v[160:161], -v[253:254]
	s_delay_alu instid0(VALU_DEP_4) | instskip(NEXT) | instid1(VALU_DEP_4)
	v_add_f64 v[128:129], v[40:41], v[128:129]
	v_add_f64 v[176:177], v[221:222], v[176:177]
	s_delay_alu instid0(VALU_DEP_3) | instskip(SKIP_1) | instid1(VALU_DEP_3)
	v_add_f64 v[160:161], v[40:41], v[160:161]
	v_mul_f64 v[40:41], v[170:171], s[8:9]
	v_add_f64 v[176:177], v[42:43], v[176:177]
	v_mul_f64 v[42:43], v[166:167], s[8:9]
	s_delay_alu instid0(VALU_DEP_3) | instskip(NEXT) | instid1(VALU_DEP_2)
	v_add_f64 v[40:41], v[188:189], v[40:41]
	v_add_f64 v[42:43], v[42:43], -v[180:181]
	v_mul_f64 v[180:181], v[178:179], s[16:17]
	s_delay_alu instid0(VALU_DEP_3) | instskip(SKIP_1) | instid1(VALU_DEP_4)
	v_add_f64 v[40:41], v[40:41], v[62:63]
	v_mul_f64 v[62:63], v[202:203], s[12:13]
	v_add_f64 v[42:43], v[42:43], v[60:61]
	s_delay_alu instid0(VALU_DEP_4)
	v_add_f64 v[180:181], v[184:185], v[180:181]
	v_mul_f64 v[184:185], v[174:175], s[16:17]
	v_mul_f64 v[60:61], v[186:187], s[14:15]
	v_add_f64 v[62:63], v[110:111], v[62:63]
	v_mul_f64 v[110:111], v[194:195], s[12:13]
	v_add_f64 v[40:41], v[180:181], v[40:41]
	v_add_f64 v[122:123], v[184:185], -v[122:123]
	v_mul_f64 v[184:185], v[190:191], s[0:1]
	v_add_f64 v[60:61], v[60:61], -v[112:113]
	v_add_f64 v[108:109], v[110:111], -v[108:109]
	s_delay_alu instid0(VALU_DEP_4) | instskip(NEXT) | instid1(VALU_DEP_4)
	v_add_f64 v[42:43], v[122:123], v[42:43]
	v_add_f64 v[172:173], v[172:173], v[184:185]
	v_mul_f64 v[184:185], v[182:183], s[0:1]
	s_delay_alu instid0(VALU_DEP_2) | instskip(NEXT) | instid1(VALU_DEP_2)
	v_add_f64 v[40:41], v[172:173], v[40:41]
	v_add_f64 v[168:169], v[184:185], -v[168:169]
	v_mul_f64 v[184:185], v[198:199], s[14:15]
	s_delay_alu instid0(VALU_DEP_2) | instskip(NEXT) | instid1(VALU_DEP_2)
	v_add_f64 v[42:43], v[168:169], v[42:43]
	v_add_f64 v[114:115], v[114:115], v[184:185]
	s_delay_alu instid0(VALU_DEP_2) | instskip(NEXT) | instid1(VALU_DEP_2)
	v_add_f64 v[60:61], v[60:61], v[42:43]
	v_add_f64 v[40:41], v[114:115], v[40:41]
	s_delay_alu instid0(VALU_DEP_1) | instskip(NEXT) | instid1(VALU_DEP_3)
	v_add_f64 v[42:43], v[62:63], v[40:41]
	v_add_f64 v[40:41], v[108:109], v[60:61]
	v_mul_f64 v[60:61], v[170:171], s[14:15]
	s_delay_alu instid0(VALU_DEP_1) | instskip(SKIP_1) | instid1(VALU_DEP_2)
	v_add_f64 v[4:5], v[4:5], v[60:61]
	v_mul_f64 v[60:61], v[166:167], s[14:15]
	v_add_f64 v[4:5], v[4:5], v[50:51]
	s_delay_alu instid0(VALU_DEP_2) | instskip(SKIP_2) | instid1(VALU_DEP_3)
	v_add_f64 v[0:1], v[60:61], -v[0:1]
	v_mul_f64 v[60:61], v[178:179], s[18:19]
	v_mul_f64 v[50:51], v[186:187], s[12:13]
	v_add_f64 v[0:1], v[0:1], v[160:161]
	s_delay_alu instid0(VALU_DEP_3) | instskip(SKIP_1) | instid1(VALU_DEP_4)
	v_add_f64 v[8:9], v[8:9], v[60:61]
	v_mul_f64 v[60:61], v[174:175], s[18:19]
	v_add_f64 v[10:11], v[50:51], -v[10:11]
	s_delay_alu instid0(VALU_DEP_3) | instskip(NEXT) | instid1(VALU_DEP_3)
	v_add_f64 v[4:5], v[8:9], v[4:5]
	v_add_f64 v[2:3], v[60:61], -v[2:3]
	v_mul_f64 v[60:61], v[190:191], s[16:17]
	v_mul_f64 v[8:9], v[178:179], s[14:15]
	s_delay_alu instid0(VALU_DEP_3) | instskip(NEXT) | instid1(VALU_DEP_3)
	v_add_f64 v[0:1], v[2:3], v[0:1]
	v_add_f64 v[12:13], v[12:13], v[60:61]
	v_mul_f64 v[60:61], v[182:183], s[16:17]
	v_mul_f64 v[2:3], v[202:203], s[8:9]
	v_add_f64 v[8:9], v[28:29], v[8:9]
	s_delay_alu instid0(VALU_DEP_4) | instskip(NEXT) | instid1(VALU_DEP_4)
	v_add_f64 v[4:5], v[12:13], v[4:5]
	v_add_f64 v[6:7], v[60:61], -v[6:7]
	v_mul_f64 v[60:61], v[198:199], s[12:13]
	v_add_f64 v[2:3], v[24:25], v[2:3]
	v_mul_f64 v[12:13], v[190:191], s[8:9]
	s_delay_alu instid0(VALU_DEP_4) | instskip(NEXT) | instid1(VALU_DEP_4)
	v_add_f64 v[0:1], v[6:7], v[0:1]
	v_add_f64 v[17:18], v[18:19], v[60:61]
	v_mul_f64 v[6:7], v[194:195], s[8:9]
	s_delay_alu instid0(VALU_DEP_4) | instskip(NEXT) | instid1(VALU_DEP_4)
	v_add_f64 v[12:13], v[36:37], v[12:13]
	v_add_f64 v[0:1], v[10:11], v[0:1]
	s_delay_alu instid0(VALU_DEP_4) | instskip(NEXT) | instid1(VALU_DEP_4)
	v_add_f64 v[4:5], v[17:18], v[4:5]
	v_add_f64 v[6:7], v[6:7], -v[14:15]
	v_mul_f64 v[10:11], v[174:175], s[14:15]
	v_mul_f64 v[14:15], v[182:183], s[8:9]
	;; [unrolled: 1-line block ×3, first 2 shown]
	v_add_f64 v[2:3], v[2:3], v[4:5]
	v_add_f64 v[0:1], v[6:7], v[0:1]
	v_mul_f64 v[4:5], v[170:171], s[18:19]
	v_mul_f64 v[6:7], v[166:167], s[18:19]
	v_add_f64 v[10:11], v[10:11], -v[20:21]
	v_add_f64 v[14:15], v[14:15], -v[26:27]
	v_mul_f64 v[19:20], v[186:187], s[0:1]
	v_add_f64 v[17:18], v[208:209], v[17:18]
	v_mul_f64 v[25:26], v[198:199], s[8:9]
	v_mul_f64 v[27:28], v[186:187], s[8:9]
	v_add_f64 v[4:5], v[22:23], v[4:5]
	v_add_f64 v[6:7], v[6:7], -v[134:135]
	v_mul_f64 v[21:22], v[198:199], s[18:19]
	v_mul_f64 v[23:24], v[186:187], s[18:19]
	v_add_f64 v[19:20], v[19:20], -v[30:31]
	scratch_load_b64 v[29:30], off, off offset:340 ; 8-byte Folded Reload
	v_add_f64 v[25:26], v[251:252], v[25:26]
	v_add_f64 v[27:28], v[27:28], -v[241:242]
	v_add_f64 v[4:5], v[4:5], v[118:119]
	v_add_f64 v[6:7], v[6:7], v[116:117]
	;; [unrolled: 1-line block ×3, first 2 shown]
	v_add_f64 v[23:24], v[23:24], -v[217:218]
	s_delay_alu instid0(VALU_DEP_4) | instskip(NEXT) | instid1(VALU_DEP_4)
	v_add_f64 v[4:5], v[8:9], v[4:5]
	v_add_f64 v[6:7], v[10:11], v[6:7]
	v_mul_f64 v[8:9], v[202:203], s[16:17]
	v_mul_f64 v[10:11], v[194:195], s[16:17]
	s_delay_alu instid0(VALU_DEP_4) | instskip(NEXT) | instid1(VALU_DEP_4)
	v_add_f64 v[4:5], v[12:13], v[4:5]
	v_add_f64 v[6:7], v[14:15], v[6:7]
	s_delay_alu instid0(VALU_DEP_4) | instskip(NEXT) | instid1(VALU_DEP_4)
	v_add_f64 v[8:9], v[210:211], v[8:9]
	v_add_f64 v[10:11], v[10:11], -v[32:33]
	v_mul_f64 v[14:15], v[174:175], s[8:9]
	scratch_load_b64 v[31:32], off, off offset:372 ; 8-byte Folded Reload
	v_add_f64 v[4:5], v[17:18], v[4:5]
	v_add_f64 v[12:13], v[19:20], v[6:7]
	v_mul_f64 v[17:18], v[190:191], s[12:13]
	v_mul_f64 v[19:20], v[182:183], s[12:13]
	v_add_f64 v[14:15], v[14:15], -v[38:39]
	v_add_f64 v[6:7], v[8:9], v[4:5]
	v_add_f64 v[4:5], v[10:11], v[12:13]
	v_mul_f64 v[8:9], v[170:171], s[16:17]
	v_mul_f64 v[10:11], v[166:167], s[16:17]
	;; [unrolled: 1-line block ×3, first 2 shown]
	v_add_f64 v[17:18], v[229:230], v[17:18]
	v_add_f64 v[19:20], v[19:20], -v[213:214]
	v_add_f64 v[8:9], v[215:216], v[8:9]
	v_add_f64 v[10:11], v[10:11], -v[34:35]
	scratch_load_b64 v[33:34], off, off offset:348 ; 8-byte Folded Reload
	v_add_f64 v[12:13], v[223:224], v[12:13]
	v_add_f64 v[8:9], v[8:9], v[132:133]
	;; [unrolled: 1-line block ×3, first 2 shown]
	s_delay_alu instid0(VALU_DEP_2) | instskip(NEXT) | instid1(VALU_DEP_2)
	v_add_f64 v[8:9], v[12:13], v[8:9]
	v_add_f64 v[10:11], v[14:15], v[10:11]
	v_mul_f64 v[12:13], v[202:203], s[0:1]
	v_mul_f64 v[14:15], v[194:195], s[0:1]
	s_delay_alu instid0(VALU_DEP_4) | instskip(NEXT) | instid1(VALU_DEP_4)
	v_add_f64 v[8:9], v[17:18], v[8:9]
	v_add_f64 v[10:11], v[19:20], v[10:11]
	s_delay_alu instid0(VALU_DEP_4) | instskip(NEXT) | instid1(VALU_DEP_4)
	v_add_f64 v[12:13], v[237:238], v[12:13]
	v_add_f64 v[14:15], v[14:15], -v[219:220]
	v_mul_f64 v[19:20], v[174:175], s[0:1]
	v_add_f64 v[8:9], v[21:22], v[8:9]
	v_add_f64 v[17:18], v[23:24], v[10:11]
	v_mul_f64 v[21:22], v[190:191], s[18:19]
	v_mul_f64 v[23:24], v[182:183], s[18:19]
	v_add_f64 v[19:20], v[19:20], -v[231:232]
	v_add_f64 v[10:11], v[12:13], v[8:9]
	v_add_f64 v[8:9], v[14:15], v[17:18]
	v_mul_f64 v[12:13], v[170:171], s[12:13]
	v_mul_f64 v[14:15], v[166:167], s[12:13]
	;; [unrolled: 1-line block ×3, first 2 shown]
	v_add_f64 v[21:22], v[247:248], v[21:22]
	v_add_f64 v[23:24], v[23:24], -v[239:240]
	v_add_f64 v[12:13], v[243:244], v[12:13]
	v_add_f64 v[14:15], v[14:15], -v[227:228]
	v_add_f64 v[17:18], v[245:246], v[17:18]
	s_delay_alu instid0(VALU_DEP_3) | instskip(NEXT) | instid1(VALU_DEP_3)
	v_add_f64 v[12:13], v[12:13], v[130:131]
	v_add_f64 v[14:15], v[14:15], v[128:129]
	s_delay_alu instid0(VALU_DEP_2) | instskip(NEXT) | instid1(VALU_DEP_2)
	v_add_f64 v[12:13], v[17:18], v[12:13]
	v_add_f64 v[14:15], v[19:20], v[14:15]
	v_mul_f64 v[17:18], v[202:203], s[14:15]
	v_mul_f64 v[19:20], v[194:195], s[14:15]
	s_delay_alu instid0(VALU_DEP_4) | instskip(NEXT) | instid1(VALU_DEP_4)
	v_add_f64 v[12:13], v[21:22], v[12:13]
	v_add_f64 v[14:15], v[23:24], v[14:15]
	s_delay_alu instid0(VALU_DEP_4) | instskip(NEXT) | instid1(VALU_DEP_4)
	v_add_f64 v[17:18], v[249:250], v[17:18]
	v_add_f64 v[19:20], v[19:20], -v[235:236]
	scratch_load_b64 v[23:24], off, off offset:332 ; 8-byte Folded Reload
	v_add_f64 v[12:13], v[25:26], v[12:13]
	scratch_load_b64 v[25:26], off, off offset:324 ; 8-byte Folded Reload
	v_add_f64 v[21:22], v[27:28], v[14:15]
	scratch_load_b64 v[27:28], off, off offset:356 ; 8-byte Folded Reload
	v_add_f64 v[14:15], v[17:18], v[12:13]
	v_mul_f64 v[17:18], v[170:171], s[0:1]
	v_add_f64 v[12:13], v[19:20], v[21:22]
	s_clause 0x1
	scratch_load_b64 v[19:20], off, off offset:316
	scratch_load_b64 v[21:22], off, off offset:308
	s_waitcnt vmcnt(1)
	v_add_f64 v[17:18], v[19:20], v[17:18]
	v_mul_f64 v[19:20], v[166:167], s[0:1]
	s_delay_alu instid0(VALU_DEP_2) | instskip(SKIP_1) | instid1(VALU_DEP_2)
	v_add_f64 v[17:18], v[17:18], v[176:177]
	s_waitcnt vmcnt(0)
	v_add_f64 v[19:20], v[19:20], -v[21:22]
	v_mul_f64 v[21:22], v[178:179], s[12:13]
	s_delay_alu instid0(VALU_DEP_2) | instskip(NEXT) | instid1(VALU_DEP_2)
	v_add_f64 v[19:20], v[19:20], v[196:197]
	v_add_f64 v[21:22], v[23:24], v[21:22]
	v_mul_f64 v[23:24], v[174:175], s[12:13]
	s_delay_alu instid0(VALU_DEP_2) | instskip(NEXT) | instid1(VALU_DEP_2)
	v_add_f64 v[17:18], v[21:22], v[17:18]
	v_add_f64 v[23:24], v[23:24], -v[25:26]
	v_mul_f64 v[25:26], v[190:191], s[14:15]
	v_mul_f64 v[21:22], v[202:203], s[18:19]
	s_delay_alu instid0(VALU_DEP_3) | instskip(NEXT) | instid1(VALU_DEP_3)
	v_add_f64 v[19:20], v[23:24], v[19:20]
	v_add_f64 v[25:26], v[27:28], v[25:26]
	scratch_load_b64 v[23:24], off, off offset:380 ; 8-byte Folded Reload
	v_mul_f64 v[27:28], v[182:183], s[14:15]
	v_add_f64 v[17:18], v[25:26], v[17:18]
	scratch_load_b64 v[25:26], off, off offset:364 ; 8-byte Folded Reload
	v_add_f64 v[27:28], v[27:28], -v[29:30]
	v_mul_f64 v[29:30], v[198:199], s[16:17]
	s_delay_alu instid0(VALU_DEP_2) | instskip(NEXT) | instid1(VALU_DEP_2)
	v_add_f64 v[19:20], v[27:28], v[19:20]
	v_add_f64 v[29:30], v[31:32], v[29:30]
	v_mul_f64 v[31:32], v[186:187], s[16:17]
	s_delay_alu instid0(VALU_DEP_2) | instskip(NEXT) | instid1(VALU_DEP_2)
	v_add_f64 v[17:18], v[29:30], v[17:18]
	v_add_f64 v[31:32], v[31:32], -v[33:34]
	s_waitcnt vmcnt(1)
	v_add_f64 v[21:22], v[23:24], v[21:22]
	v_mul_f64 v[23:24], v[194:195], s[18:19]
	s_waitcnt vmcnt(0)
	s_delay_alu instid0(VALU_DEP_1) | instskip(NEXT) | instid1(VALU_DEP_4)
	v_add_f64 v[23:24], v[23:24], -v[25:26]
	v_add_f64 v[25:26], v[31:32], v[19:20]
	s_delay_alu instid0(VALU_DEP_4)
	v_add_f64 v[19:20], v[21:22], v[17:18]
	scratch_load_b64 v[21:22], off, off offset:228 ; 8-byte Folded Reload
	v_add_f64 v[17:18], v[23:24], v[25:26]
	s_clause 0x1
	scratch_load_b64 v[25:26], off, off offset:244
	scratch_load_b64 v[23:24], off, off offset:220
	s_waitcnt vmcnt(2)
	v_add_f64 v[21:22], v[164:165], v[21:22]
	s_waitcnt vmcnt(1)
	s_delay_alu instid0(VALU_DEP_1) | instskip(SKIP_4) | instid1(VALU_DEP_1)
	v_add_f64 v[21:22], v[21:22], v[25:26]
	scratch_load_b64 v[25:26], off, off offset:236 ; 8-byte Folded Reload
	s_waitcnt vmcnt(1)
	v_add_f64 v[23:24], v[162:163], v[23:24]
	s_waitcnt vmcnt(0)
	v_add_f64 v[23:24], v[23:24], v[25:26]
	scratch_load_b64 v[25:26], off, off offset:292 ; 8-byte Folded Reload
	s_waitcnt vmcnt(0)
	v_add_f64 v[21:22], v[21:22], v[25:26]
	scratch_load_b64 v[25:26], off, off offset:284 ; 8-byte Folded Reload
	v_add_f64 v[21:22], v[21:22], v[56:57]
	s_delay_alu instid0(VALU_DEP_1) | instskip(NEXT) | instid1(VALU_DEP_1)
	v_add_f64 v[21:22], v[21:22], v[46:47]
	v_add_f64 v[21:22], v[21:22], v[48:49]
	s_delay_alu instid0(VALU_DEP_1)
	v_add_f64 v[21:22], v[21:22], v[52:53]
	s_waitcnt vmcnt(0)
	v_add_f64 v[23:24], v[23:24], v[25:26]
	scratch_load_b64 v[25:26], off, off offset:300 ; 8-byte Folded Reload
	s_waitcnt vmcnt(0)
	v_add_f64 v[23:24], v[23:24], v[25:26]
	scratch_load_b64 v[25:26], off, off offset:276 ; 8-byte Folded Reload
	v_add_f64 v[23:24], v[23:24], v[54:55]
	s_delay_alu instid0(VALU_DEP_1) | instskip(NEXT) | instid1(VALU_DEP_1)
	v_add_f64 v[23:24], v[23:24], v[44:45]
	v_add_f64 v[23:24], v[23:24], v[58:59]
	s_waitcnt vmcnt(0)
	v_add_f64 v[21:22], v[21:22], v[25:26]
	scratch_load_b64 v[25:26], off, off offset:268 ; 8-byte Folded Reload
	s_waitcnt vmcnt(0)
	v_add_f64 v[23:24], v[23:24], v[25:26]
	scratch_load_b64 v[25:26], off, off offset:260 ; 8-byte Folded Reload
	;; [unrolled: 3-line block ×7, first 2 shown]
	s_waitcnt vmcnt(0)
	v_add_f64 v[21:22], v[25:26], v[21:22]
	s_clause 0x1
	scratch_load_b32 v25, off, off offset:192
	scratch_load_b32 v26, off, off offset:188
	s_waitcnt vmcnt(1)
	v_mul_u32_u24_e32 v25, 0x82, v25
	s_waitcnt vmcnt(0)
	s_delay_alu instid0(VALU_DEP_1)
	v_add_lshl_u32 v25, v25, v26, 4
	ds_store_b128 v25, v[0:3] offset:320
	ds_store_b128 v25, v[4:7] offset:480
	;; [unrolled: 1-line block ×11, first 2 shown]
	ds_store_b128 v25, v[21:24]
	ds_store_b128 v25, v[140:143] offset:1920
.LBB0_5:
	s_or_b32 exec_lo, exec_lo, s20
	s_waitcnt lgkmcnt(0)
	s_barrier
	buffer_gl0_inv
	ds_load_b128 v[160:163], v212
	ds_load_b128 v[180:183], v212 offset:4160
	ds_load_b128 v[176:179], v212 offset:8320
	;; [unrolled: 1-line block ×6, first 2 shown]
	scratch_load_b32 v0, off, off           ; 4-byte Folded Reload
                                        ; implicit-def: $vgpr188_vgpr189
	s_waitcnt vmcnt(0)
	v_cmp_gt_u16_e64 s0, 0x4e, v0
	s_delay_alu instid0(VALU_DEP_1)
	s_and_saveexec_b32 s1, s0
	s_cbranch_execz .LBB0_7
; %bb.6:
	ds_load_b128 v[136:139], v212 offset:2912
	ds_load_b128 v[156:159], v212 offset:7072
	;; [unrolled: 1-line block ×7, first 2 shown]
.LBB0_7:
	s_or_b32 exec_lo, exec_lo, s1
	scratch_load_b32 v196, off, off         ; 4-byte Folded Reload
	s_mov_b32 s8, 0x37e14327
	s_mov_b32 s12, 0x36b3c0b5
	;; [unrolled: 1-line block ×13, first 2 shown]
	s_waitcnt vmcnt(0)
	v_add_nc_u32_e32 v0, 0xb6, v196
	v_add_nc_u32_e32 v2, 0xffffff7e, v196
	v_cmp_gt_u16_e64 s1, 0x82, v196
	s_delay_alu instid0(VALU_DEP_3) | instskip(NEXT) | instid1(VALU_DEP_2)
	v_and_b32_e32 v1, 0xffff, v0
	v_cndmask_b32_e64 v195, v2, v196, s1
	s_delay_alu instid0(VALU_DEP_2) | instskip(NEXT) | instid1(VALU_DEP_2)
	v_mul_u32_u24_e32 v1, 0xfc1, v1
	v_mul_i32_i24_e32 v2, 0x60, v195
	v_mul_hi_i32_i24_e32 v3, 0x60, v195
	s_delay_alu instid0(VALU_DEP_3) | instskip(NEXT) | instid1(VALU_DEP_1)
	v_lshrrev_b32_e32 v1, 19, v1
	v_mul_lo_u16 v1, 0x82, v1
	s_delay_alu instid0(VALU_DEP_1) | instskip(SKIP_1) | instid1(VALU_DEP_1)
	v_sub_nc_u16 v17, v0, v1
	v_add_co_u32 v0, s1, s10, v2
	v_add_co_ci_u32_e64 v1, s1, s11, v3, s1
	s_delay_alu instid0(VALU_DEP_3)
	v_mul_lo_u16 v2, 0x60, v17
	v_and_b32_e32 v17, 0xffff, v17
	s_clause 0x3
	global_load_b128 v[120:123], v[0:1], off offset:1920
	global_load_b128 v[116:119], v[0:1], off offset:1936
	;; [unrolled: 1-line block ×4, first 2 shown]
	v_and_b32_e32 v2, 0xffff, v2
	s_delay_alu instid0(VALU_DEP_1) | instskip(NEXT) | instid1(VALU_DEP_1)
	v_add_co_u32 v2, s1, s10, v2
	v_add_co_ci_u32_e64 v3, null, s11, 0, s1
	v_cmp_lt_u16_e64 s1, 0x81, v196
	s_clause 0x7
	global_load_b128 v[44:47], v[2:3], off offset:1920
	global_load_b128 v[40:43], v[2:3], off offset:1936
	;; [unrolled: 1-line block ×8, first 2 shown]
	s_waitcnt vmcnt(10) lgkmcnt(4)
	v_mul_f64 v[4:5], v[178:179], v[118:119]
	v_mul_f64 v[0:1], v[182:183], v[122:123]
	;; [unrolled: 1-line block ×4, first 2 shown]
	s_waitcnt vmcnt(9) lgkmcnt(0)
	v_mul_f64 v[8:9], v[186:187], v[114:115]
	v_mul_f64 v[10:11], v[184:185], v[114:115]
	s_waitcnt vmcnt(8)
	v_mul_f64 v[12:13], v[174:175], v[110:111]
	v_mul_f64 v[14:15], v[172:173], v[110:111]
	s_waitcnt vmcnt(7)
	;; [unrolled: 3-line block ×7, first 2 shown]
	v_mul_f64 v[38:39], v[166:167], v[130:131]
	v_mul_f64 v[193:194], v[164:165], v[130:131]
	v_fma_f64 v[4:5], v[176:177], v[116:117], -v[4:5]
	v_fma_f64 v[0:1], v[180:181], v[120:121], -v[0:1]
	v_fma_f64 v[2:3], v[182:183], v[120:121], v[2:3]
	v_fma_f64 v[6:7], v[178:179], v[116:117], v[6:7]
	v_fma_f64 v[8:9], v[184:185], v[112:113], -v[8:9]
	v_fma_f64 v[10:11], v[186:187], v[112:113], v[10:11]
	v_fma_f64 v[12:13], v[172:173], v[108:109], -v[12:13]
	v_fma_f64 v[14:15], v[174:175], v[108:109], v[14:15]
	s_waitcnt vmcnt(1)
	v_mul_f64 v[172:173], v[150:151], v[58:59]
	v_mul_f64 v[174:175], v[148:149], v[58:59]
	s_waitcnt vmcnt(0)
	v_mul_f64 v[176:177], v[146:147], v[54:55]
	v_mul_f64 v[178:179], v[144:145], v[54:55]
	v_fma_f64 v[18:19], v[156:157], v[44:45], -v[18:19]
	v_fma_f64 v[20:21], v[158:159], v[44:45], v[20:21]
	v_fma_f64 v[22:23], v[152:153], v[40:41], -v[22:23]
	v_fma_f64 v[24:25], v[154:155], v[40:41], v[24:25]
	;; [unrolled: 2-line block ×6, first 2 shown]
	v_add_f64 v[142:143], v[0:1], v[8:9]
	v_add_f64 v[152:153], v[2:3], v[10:11]
	;; [unrolled: 1-line block ×4, first 2 shown]
	v_fma_f64 v[148:149], v[148:149], v[56:57], -v[172:173]
	v_fma_f64 v[150:151], v[150:151], v[56:57], v[174:175]
	v_fma_f64 v[144:145], v[144:145], v[52:53], -v[176:177]
	v_fma_f64 v[146:147], v[146:147], v[52:53], v[178:179]
	v_add_f64 v[4:5], v[4:5], -v[12:13]
	v_add_f64 v[6:7], v[6:7], -v[14:15]
	;; [unrolled: 1-line block ×4, first 2 shown]
	v_add_f64 v[158:159], v[18:19], v[26:27]
	v_add_f64 v[164:165], v[20:21], v[28:29]
	;; [unrolled: 1-line block ×4, first 2 shown]
	v_add_f64 v[22:23], v[22:23], -v[30:31]
	v_add_f64 v[24:25], v[24:25], -v[32:33]
	v_add_f64 v[12:13], v[34:35], v[38:39]
	v_add_f64 v[14:15], v[36:37], v[140:141]
	v_add_f64 v[34:35], v[38:39], -v[34:35]
	v_add_f64 v[36:37], v[140:141], -v[36:37]
	;; [unrolled: 1-line block ×4, first 2 shown]
	v_add_f64 v[8:9], v[154:155], v[142:143]
	v_add_f64 v[10:11], v[156:157], v[152:153]
	v_add_f64 v[30:31], v[148:149], v[144:145]
	v_add_f64 v[32:33], v[150:151], v[146:147]
	v_add_f64 v[38:39], v[144:145], -v[148:149]
	v_add_f64 v[140:141], v[146:147], -v[150:151]
	;; [unrolled: 1-line block ×4, first 2 shown]
	v_add_f64 v[144:145], v[166:167], v[158:159]
	v_add_f64 v[146:147], v[168:169], v[164:165]
	v_add_f64 v[18:19], v[142:143], -v[12:13]
	v_add_f64 v[20:21], v[152:153], -v[14:15]
	;; [unrolled: 1-line block ×8, first 2 shown]
	v_add_f64 v[4:5], v[34:35], v[4:5]
	v_add_f64 v[6:7], v[36:37], v[6:7]
	v_add_f64 v[34:35], v[0:1], -v[34:35]
	v_add_f64 v[36:37], v[2:3], -v[36:37]
	v_add_f64 v[8:9], v[12:13], v[8:9]
	v_add_f64 v[10:11], v[14:15], v[10:11]
	v_add_f64 v[12:13], v[12:13], -v[154:155]
	v_add_f64 v[14:15], v[14:15], -v[156:157]
	;; [unrolled: 1-line block ×6, first 2 shown]
	v_add_f64 v[22:23], v[38:39], v[22:23]
	v_add_f64 v[24:25], v[140:141], v[24:25]
	v_add_f64 v[38:39], v[26:27], -v[38:39]
	v_add_f64 v[140:141], v[28:29], -v[140:141]
	v_add_f64 v[144:145], v[30:31], v[144:145]
	v_add_f64 v[146:147], v[32:33], v[146:147]
	v_add_f64 v[30:31], v[158:159], -v[30:31]
	v_add_f64 v[32:33], v[164:165], -v[32:33]
	v_mul_f64 v[154:155], v[18:19], s[8:9]
	v_mul_f64 v[156:157], v[20:21], s[8:9]
	;; [unrolled: 1-line block ×4, first 2 shown]
	v_add_f64 v[158:159], v[166:167], -v[158:159]
	v_add_f64 v[164:165], v[168:169], -v[164:165]
	v_mul_f64 v[166:167], v[170:171], s[16:17]
	v_mul_f64 v[168:169], v[172:173], s[16:17]
	;; [unrolled: 1-line block ×4, first 2 shown]
	v_add_f64 v[0:1], v[4:5], v[0:1]
	v_add_f64 v[2:3], v[6:7], v[2:3]
	;; [unrolled: 1-line block ×4, first 2 shown]
	v_mul_f64 v[160:161], v[12:13], s[12:13]
	v_mul_f64 v[162:163], v[14:15], s[12:13]
	;; [unrolled: 1-line block ×6, first 2 shown]
	s_mov_b32 s14, 0xaaaaaaaa
	s_mov_b32 s15, 0xbff2aaaa
	v_add_f64 v[4:5], v[22:23], v[26:27]
	v_add_f64 v[6:7], v[24:25], v[28:29]
	;; [unrolled: 1-line block ×4, first 2 shown]
	v_mul_f64 v[30:31], v[30:31], s[8:9]
	v_mul_f64 v[32:33], v[32:33], s[8:9]
	s_mov_b32 s8, 0x5476071b
	s_mov_b32 s9, 0x3fe77f67
	;; [unrolled: 1-line block ×3, first 2 shown]
	v_fma_f64 v[12:13], v[12:13], s[12:13], v[154:155]
	v_fma_f64 v[14:15], v[14:15], s[12:13], v[156:157]
	;; [unrolled: 1-line block ×4, first 2 shown]
	v_fma_f64 v[26:27], v[170:171], s[16:17], -v[148:149]
	v_fma_f64 v[28:29], v[172:173], s[16:17], -v[150:151]
	;; [unrolled: 1-line block ×6, first 2 shown]
	v_fma_f64 v[8:9], v[8:9], s[14:15], v[18:19]
	v_fma_f64 v[10:11], v[10:11], s[14:15], v[20:21]
	v_fma_f64 v[142:143], v[142:143], s[8:9], -v[160:161]
	v_fma_f64 v[152:153], v[152:153], s[8:9], -v[162:163]
	;; [unrolled: 1-line block ×4, first 2 shown]
	v_fma_f64 v[160:161], v[38:39], s[20:21], v[178:179]
	v_fma_f64 v[162:163], v[140:141], s[20:21], v[180:181]
	v_fma_f64 v[166:167], v[182:183], s[16:17], -v[178:179]
	v_fma_f64 v[168:169], v[184:185], s[16:17], -v[180:181]
	;; [unrolled: 1-line block ×4, first 2 shown]
	v_fma_f64 v[144:145], v[144:145], s[14:15], v[136:137]
	v_fma_f64 v[146:147], v[146:147], s[14:15], v[138:139]
	v_fma_f64 v[158:159], v[158:159], s[18:19], -v[30:31]
	v_fma_f64 v[164:165], v[164:165], s[18:19], -v[32:33]
	v_fma_f64 v[30:31], v[174:175], s[12:13], v[30:31]
	v_fma_f64 v[32:33], v[176:177], s[12:13], v[32:33]
	s_mov_b32 s8, 0x37c3f68c
	s_mov_b32 s9, 0x3fdc38aa
	s_delay_alu instid0(SALU_CYCLE_1)
	v_fma_f64 v[170:171], v[0:1], s[8:9], v[22:23]
	v_fma_f64 v[172:173], v[2:3], s[8:9], v[24:25]
	;; [unrolled: 1-line block ×6, first 2 shown]
	v_add_f64 v[182:183], v[12:13], v[8:9]
	v_add_f64 v[184:185], v[14:15], v[10:11]
	;; [unrolled: 1-line block ×6, first 2 shown]
	v_fma_f64 v[2:3], v[4:5], s[8:9], v[160:161]
	v_fma_f64 v[0:1], v[6:7], s[8:9], v[162:163]
	;; [unrolled: 1-line block ×6, first 2 shown]
	v_add_f64 v[154:155], v[154:155], v[144:145]
	v_add_f64 v[156:157], v[156:157], v[146:147]
	;; [unrolled: 1-line block ×6, first 2 shown]
	v_cndmask_b32_e64 v38, 0, 0x38e, s1
	s_delay_alu instid0(VALU_DEP_1)
	v_add_lshl_u32 v213, v195, v38, 4
	v_add_f64 v[22:23], v[172:173], v[182:183]
	v_add_f64 v[24:25], v[184:185], -v[170:171]
	v_add_f64 v[26:27], v[180:181], v[148:149]
	v_add_f64 v[28:29], v[150:151], -v[178:179]
	v_add_f64 v[140:141], v[148:149], -v[180:181]
	v_add_f64 v[142:143], v[178:179], v[150:151]
	v_add_f64 v[146:147], v[170:171], v[184:185]
	v_add_f64 v[30:31], v[34:35], -v[176:177]
	v_add_f64 v[32:33], v[174:175], v[36:37]
	v_add_f64 v[34:35], v[176:177], v[34:35]
	v_add_f64 v[36:37], v[36:37], -v[174:175]
	v_add_f64 v[144:145], v[182:183], -v[172:173]
	;; [unrolled: 1-line block ×3, first 2 shown]
	v_add_f64 v[162:163], v[152:153], v[156:157]
	v_add_f64 v[164:165], v[166:167], v[154:155]
	v_add_f64 v[166:167], v[156:157], -v[152:153]
	v_add_f64 v[168:169], v[6:7], -v[4:5]
	v_add_f64 v[170:171], v[12:13], v[14:15]
	v_add_f64 v[148:149], v[8:9], -v[0:1]
	v_add_f64 v[150:151], v[2:3], v[10:11]
	scratch_store_b128 off, v[148:151], off offset:4 ; 16-byte Folded Spill
	s_waitcnt_vscnt null, 0x0
	s_barrier
	buffer_gl0_inv
	ds_store_b128 v213, v[18:21]
	ds_store_b128 v213, v[22:25] offset:2080
	scratch_store_b32 off, v17, off offset:196 ; 4-byte Folded Spill
	ds_store_b128 v213, v[26:29] offset:4160
	ds_store_b128 v213, v[30:33] offset:6240
	;; [unrolled: 1-line block ×5, first 2 shown]
	s_and_saveexec_b32 s1, s0
	s_cbranch_execz .LBB0_9
; %bb.8:
	v_add_f64 v[2:3], v[10:11], -v[2:3]
	v_add_f64 v[10:11], v[4:5], v[6:7]
	scratch_load_b32 v4, off, off offset:196 ; 4-byte Folded Reload
	v_add_f64 v[0:1], v[0:1], v[8:9]
	v_add_f64 v[12:13], v[14:15], -v[12:13]
	s_waitcnt vmcnt(0)
	v_lshlrev_b32_e32 v4, 4, v4
	ds_store_b128 v4, v[164:167] offset:22880
	ds_store_b128 v4, v[168:171] offset:24960
	;; [unrolled: 1-line block ×6, first 2 shown]
	scratch_load_b128 v[0:3], off, off offset:4 ; 16-byte Folded Reload
	s_waitcnt vmcnt(0)
	ds_store_b128 v4, v[0:3] offset:27040
.LBB0_9:
	s_or_b32 exec_lo, exec_lo, s1
	v_add_co_u32 v25, s1, s10, v212
	s_delay_alu instid0(VALU_DEP_1) | instskip(SKIP_2) | instid1(VALU_DEP_2)
	v_add_co_ci_u32_e64 v26, null, s11, 0, s1
	s_waitcnt lgkmcnt(0)
	s_waitcnt_vscnt null, 0x0
	v_add_co_u32 v0, s1, 0x3000, v25
	s_delay_alu instid0(VALU_DEP_1)
	v_add_co_ci_u32_e64 v1, s1, 0, v26, s1
	s_barrier
	buffer_gl0_inv
	s_mov_b32 s8, 0x134454ff
	global_load_b128 v[136:139], v[0:1], off offset:2112
	v_add_co_u32 v0, s1, 0x4000, v25
	s_delay_alu instid0(VALU_DEP_1)
	v_add_co_ci_u32_e64 v1, s1, 0, v26, s1
	s_mov_b32 s9, 0xbfee6f0e
	s_mov_b32 s11, 0x3fee6f0e
	s_clause 0x1
	global_load_b128 v[140:143], v[0:1], off offset:928
	global_load_b128 v[144:147], v[0:1], off offset:3840
	v_add_co_u32 v0, s1, 0x5000, v25
	s_delay_alu instid0(VALU_DEP_1)
	v_add_co_ci_u32_e64 v1, s1, 0, v26, s1
	s_mov_b32 s10, s8
	s_mov_b32 s12, 0x4755a5e
	s_mov_b32 s13, 0xbfe2cf23
	global_load_b128 v[148:151], v[0:1], off offset:2656
	ds_load_b128 v[0:3], v212 offset:14560
	ds_load_b128 v[4:7], v212 offset:11648
	;; [unrolled: 1-line block ×4, first 2 shown]
	s_mov_b32 s15, 0x3fe2cf23
	s_mov_b32 s14, s12
	;; [unrolled: 1-line block ×8, first 2 shown]
	s_waitcnt vmcnt(3) lgkmcnt(3)
	v_mul_f64 v[17:18], v[2:3], v[138:139]
	v_mul_f64 v[19:20], v[0:1], v[138:139]
	s_waitcnt vmcnt(2) lgkmcnt(1)
	v_mul_f64 v[21:22], v[10:11], v[142:143]
	s_delay_alu instid0(VALU_DEP_3) | instskip(SKIP_1) | instid1(VALU_DEP_4)
	v_fma_f64 v[17:18], v[0:1], v[136:137], -v[17:18]
	v_mul_f64 v[0:1], v[8:9], v[142:143]
	v_fma_f64 v[19:20], v[2:3], v[136:137], v[19:20]
	s_waitcnt vmcnt(1) lgkmcnt(0)
	v_mul_f64 v[2:3], v[14:15], v[146:147]
	v_fma_f64 v[21:22], v[8:9], v[140:141], -v[21:22]
	s_delay_alu instid0(VALU_DEP_4) | instskip(SKIP_1) | instid1(VALU_DEP_4)
	v_fma_f64 v[23:24], v[10:11], v[140:141], v[0:1]
	v_mul_f64 v[0:1], v[12:13], v[146:147]
	v_fma_f64 v[29:30], v[12:13], v[144:145], -v[2:3]
	s_delay_alu instid0(VALU_DEP_2) | instskip(SKIP_4) | instid1(VALU_DEP_1)
	v_fma_f64 v[31:32], v[14:15], v[144:145], v[0:1]
	ds_load_b128 v[0:3], v212 offset:23296
	ds_load_b128 v[8:11], v212 offset:26208
	s_waitcnt vmcnt(0) lgkmcnt(1)
	v_mul_f64 v[12:13], v[2:3], v[150:151]
	v_fma_f64 v[33:34], v[0:1], v[148:149], -v[12:13]
	v_mul_f64 v[0:1], v[0:1], v[150:151]
	s_delay_alu instid0(VALU_DEP_1) | instskip(SKIP_1) | instid1(VALU_DEP_1)
	v_fma_f64 v[35:36], v[2:3], v[148:149], v[0:1]
	v_add_co_u32 v0, s1, 0x6000, v25
	v_add_co_ci_u32_e64 v1, s1, 0, v26, s1
	global_load_b128 v[156:159], v[0:1], off offset:1472
	s_waitcnt vmcnt(0) lgkmcnt(0)
	v_mul_f64 v[0:1], v[10:11], v[158:159]
	s_delay_alu instid0(VALU_DEP_1) | instskip(SKIP_1) | instid1(VALU_DEP_2)
	v_fma_f64 v[37:38], v[8:9], v[156:157], -v[0:1]
	v_mul_f64 v[0:1], v[8:9], v[158:159]
	v_add_f64 v[152:153], v[4:5], -v[37:38]
	s_delay_alu instid0(VALU_DEP_2)
	v_fma_f64 v[154:155], v[10:11], v[156:157], v[0:1]
	ds_load_b128 v[0:3], v212
	ds_load_b128 v[8:11], v212 offset:2912
	s_waitcnt lgkmcnt(1)
	v_add_f64 v[12:13], v[0:1], -v[17:18]
	v_add_f64 v[14:15], v[2:3], -v[19:20]
	s_waitcnt lgkmcnt(0)
	v_add_f64 v[17:18], v[8:9], -v[21:22]
	v_add_f64 v[19:20], v[10:11], -v[23:24]
	ds_load_b128 v[21:24], v212 offset:5824
	ds_load_b128 v[25:28], v212 offset:8736
	v_fma_f64 v[4:5], v[4:5], 2.0, -v[152:153]
	v_add_f64 v[154:155], v[6:7], -v[154:155]
	s_waitcnt lgkmcnt(1)
	v_add_f64 v[29:30], v[21:22], -v[29:30]
	v_add_f64 v[31:32], v[23:24], -v[31:32]
	s_waitcnt lgkmcnt(0)
	v_add_f64 v[33:34], v[25:26], -v[33:34]
	v_add_f64 v[35:36], v[27:28], -v[35:36]
	v_fma_f64 v[0:1], v[0:1], 2.0, -v[12:13]
	v_fma_f64 v[2:3], v[2:3], 2.0, -v[14:15]
	;; [unrolled: 1-line block ×4, first 2 shown]
	ds_store_b128 v212, v[17:20] offset:17472
	ds_store_b128 v212, v[29:32] offset:20384
	;; [unrolled: 1-line block ×4, first 2 shown]
	ds_store_b128 v212, v[0:3]
	ds_store_b128 v212, v[8:11] offset:2912
	v_fma_f64 v[21:22], v[21:22], 2.0, -v[29:30]
	v_fma_f64 v[23:24], v[23:24], 2.0, -v[31:32]
	;; [unrolled: 1-line block ×5, first 2 shown]
	v_add_co_u32 v0, s1, 0x7000, v255
	s_delay_alu instid0(VALU_DEP_1)
	v_add_co_ci_u32_e64 v1, s1, 0, v192, s1
	ds_store_b128 v212, v[21:24] offset:5824
	ds_store_b128 v212, v[25:28] offset:8736
	;; [unrolled: 1-line block ×4, first 2 shown]
	s_waitcnt lgkmcnt(0)
	s_barrier
	buffer_gl0_inv
	global_load_b128 v[0:3], v[0:1], off offset:448
	v_add_co_u32 v4, s1, 0x71c0, v255
	s_delay_alu instid0(VALU_DEP_1)
	v_add_co_ci_u32_e64 v5, s1, 0, v192, s1
	global_load_b128 v[4:7], v[4:5], off offset:2912
	ds_load_b128 v[8:11], v212
	ds_load_b128 v[12:15], v212 offset:2912
	s_waitcnt vmcnt(1) lgkmcnt(1)
	v_mul_f64 v[17:18], v[10:11], v[2:3]
	v_mul_f64 v[2:3], v[8:9], v[2:3]
	s_delay_alu instid0(VALU_DEP_2) | instskip(NEXT) | instid1(VALU_DEP_2)
	v_fma_f64 v[8:9], v[8:9], v[0:1], -v[17:18]
	v_fma_f64 v[10:11], v[10:11], v[0:1], v[2:3]
	s_waitcnt vmcnt(0) lgkmcnt(0)
	v_mul_f64 v[0:1], v[14:15], v[6:7]
	v_mul_f64 v[2:3], v[12:13], v[6:7]
	v_add_co_u32 v6, s1, 0x8000, v255
	s_delay_alu instid0(VALU_DEP_1) | instskip(SKIP_1) | instid1(VALU_DEP_1)
	v_add_co_ci_u32_e64 v7, s1, 0, v192, s1
	v_add_co_u32 v25, s1, 0x9000, v255
	v_add_co_ci_u32_e64 v26, s1, 0, v192, s1
	v_fma_f64 v[0:1], v[12:13], v[4:5], -v[0:1]
	v_fma_f64 v[2:3], v[14:15], v[4:5], v[2:3]
	s_clause 0x1
	global_load_b128 v[4:7], v[6:7], off offset:2176
	global_load_b128 v[12:15], v[25:26], off offset:992
	ds_load_b128 v[17:20], v212 offset:5824
	ds_load_b128 v[21:24], v212 offset:8736
	s_waitcnt vmcnt(1) lgkmcnt(1)
	v_mul_f64 v[27:28], v[19:20], v[6:7]
	v_mul_f64 v[6:7], v[17:18], v[6:7]
	s_delay_alu instid0(VALU_DEP_2) | instskip(NEXT) | instid1(VALU_DEP_2)
	v_fma_f64 v[17:18], v[17:18], v[4:5], -v[27:28]
	v_fma_f64 v[19:20], v[19:20], v[4:5], v[6:7]
	s_waitcnt vmcnt(0) lgkmcnt(0)
	v_mul_f64 v[4:5], v[23:24], v[14:15]
	v_mul_f64 v[6:7], v[21:22], v[14:15]
	s_delay_alu instid0(VALU_DEP_2) | instskip(SKIP_1) | instid1(VALU_DEP_1)
	v_fma_f64 v[4:5], v[21:22], v[12:13], -v[4:5]
	v_add_co_u32 v21, s1, 0xa000, v255
	v_add_co_ci_u32_e64 v22, s1, 0, v192, s1
	s_delay_alu instid0(VALU_DEP_4)
	v_fma_f64 v[6:7], v[23:24], v[12:13], v[6:7]
	s_clause 0x1
	global_load_b128 v[12:15], v[25:26], off offset:3904
	global_load_b128 v[21:24], v[21:22], off offset:2720
	ds_load_b128 v[25:28], v212 offset:11648
	ds_load_b128 v[29:32], v212 offset:14560
	s_waitcnt vmcnt(1) lgkmcnt(1)
	v_mul_f64 v[33:34], v[27:28], v[14:15]
	v_mul_f64 v[14:15], v[25:26], v[14:15]
	s_delay_alu instid0(VALU_DEP_2) | instskip(NEXT) | instid1(VALU_DEP_2)
	v_fma_f64 v[25:26], v[25:26], v[12:13], -v[33:34]
	v_fma_f64 v[27:28], v[27:28], v[12:13], v[14:15]
	s_waitcnt vmcnt(0) lgkmcnt(0)
	v_mul_f64 v[12:13], v[31:32], v[23:24]
	v_mul_f64 v[14:15], v[29:30], v[23:24]
	s_delay_alu instid0(VALU_DEP_2) | instskip(NEXT) | instid1(VALU_DEP_2)
	v_fma_f64 v[12:13], v[29:30], v[21:22], -v[12:13]
	v_fma_f64 v[14:15], v[31:32], v[21:22], v[14:15]
	v_add_co_u32 v21, s1, 0xb000, v255
	s_delay_alu instid0(VALU_DEP_1) | instskip(SKIP_1) | instid1(VALU_DEP_1)
	v_add_co_ci_u32_e64 v22, s1, 0, v192, s1
	v_add_co_u32 v37, s1, 0xc000, v255
	v_add_co_ci_u32_e64 v38, s1, 0, v192, s1
	s_clause 0x1
	global_load_b128 v[21:24], v[21:22], off offset:1536
	global_load_b128 v[29:32], v[37:38], off offset:352
	ds_load_b128 v[33:36], v212 offset:17472
	ds_load_b128 v[152:155], v212 offset:20384
	s_waitcnt vmcnt(1) lgkmcnt(1)
	v_mul_f64 v[172:173], v[35:36], v[23:24]
	v_mul_f64 v[23:24], v[33:34], v[23:24]
	s_delay_alu instid0(VALU_DEP_2) | instskip(NEXT) | instid1(VALU_DEP_2)
	v_fma_f64 v[33:34], v[33:34], v[21:22], -v[172:173]
	v_fma_f64 v[35:36], v[35:36], v[21:22], v[23:24]
	s_waitcnt vmcnt(0) lgkmcnt(0)
	v_mul_f64 v[21:22], v[154:155], v[31:32]
	v_mul_f64 v[23:24], v[152:153], v[31:32]
	s_delay_alu instid0(VALU_DEP_2) | instskip(SKIP_1) | instid1(VALU_DEP_1)
	v_fma_f64 v[21:22], v[152:153], v[29:30], -v[21:22]
	v_add_co_u32 v152, s1, 0xd000, v255
	v_add_co_ci_u32_e64 v153, s1, 0, v192, s1
	s_delay_alu instid0(VALU_DEP_4)
	v_fma_f64 v[23:24], v[154:155], v[29:30], v[23:24]
	s_clause 0x1
	global_load_b128 v[29:32], v[37:38], off offset:3264
	global_load_b128 v[152:155], v[152:153], off offset:2080
	ds_load_b128 v[172:175], v212 offset:23296
	ds_load_b128 v[176:179], v212 offset:26208
	s_waitcnt vmcnt(1) lgkmcnt(1)
	v_mul_f64 v[37:38], v[174:175], v[31:32]
	v_mul_f64 v[31:32], v[172:173], v[31:32]
	s_delay_alu instid0(VALU_DEP_2) | instskip(NEXT) | instid1(VALU_DEP_2)
	v_fma_f64 v[172:173], v[172:173], v[29:30], -v[37:38]
	v_fma_f64 v[174:175], v[174:175], v[29:30], v[31:32]
	s_waitcnt vmcnt(0) lgkmcnt(0)
	v_mul_f64 v[29:30], v[178:179], v[154:155]
	v_mul_f64 v[31:32], v[176:177], v[154:155]
	s_delay_alu instid0(VALU_DEP_2) | instskip(NEXT) | instid1(VALU_DEP_2)
	v_fma_f64 v[29:30], v[176:177], v[152:153], -v[29:30]
	v_fma_f64 v[31:32], v[178:179], v[152:153], v[31:32]
	ds_store_b128 v212, v[8:11]
	ds_store_b128 v212, v[0:3] offset:2912
	ds_store_b128 v212, v[17:20] offset:5824
	;; [unrolled: 1-line block ×9, first 2 shown]
	s_waitcnt lgkmcnt(0)
	s_barrier
	buffer_gl0_inv
	ds_load_b128 v[0:3], v212
	ds_load_b128 v[4:7], v212 offset:5824
	ds_load_b128 v[8:11], v212 offset:23296
	;; [unrolled: 1-line block ×7, first 2 shown]
	s_waitcnt lgkmcnt(6)
	v_add_f64 v[33:34], v[0:1], v[4:5]
	v_add_f64 v[35:36], v[2:3], v[6:7]
	s_waitcnt lgkmcnt(5)
	v_add_f64 v[37:38], v[4:5], v[8:9]
	v_add_f64 v[152:153], v[6:7], v[10:11]
	v_add_f64 v[154:155], v[6:7], -v[10:11]
	v_add_f64 v[192:193], v[4:5], -v[8:9]
	s_waitcnt lgkmcnt(1)
	v_add_f64 v[176:177], v[4:5], -v[25:26]
	v_add_f64 v[184:185], v[25:26], -v[4:5]
	;; [unrolled: 1-line block ×4, first 2 shown]
	v_add_f64 v[194:195], v[14:15], v[23:24]
	v_add_f64 v[200:201], v[12:13], -v[21:22]
	v_add_f64 v[196:197], v[12:13], v[21:22]
	v_add_f64 v[202:203], v[14:15], -v[23:24]
	s_waitcnt lgkmcnt(0)
	v_add_f64 v[198:199], v[12:13], -v[29:30]
	v_add_f64 v[204:205], v[14:15], -v[31:32]
	v_add_f64 v[172:173], v[33:34], v[25:26]
	v_add_f64 v[174:175], v[35:36], v[27:28]
	ds_load_b128 v[4:7], v212 offset:17472
	ds_load_b128 v[33:36], v212 offset:20384
	s_waitcnt lgkmcnt(0)
	s_barrier
	buffer_gl0_inv
	v_add_f64 v[180:181], v[25:26], v[4:5]
	v_add_f64 v[182:183], v[27:28], v[6:7]
	v_add_f64 v[27:28], v[27:28], -v[6:7]
	v_add_f64 v[25:26], v[25:26], -v[4:5]
	;; [unrolled: 1-line block ×4, first 2 shown]
	v_add_f64 v[206:207], v[31:32], v[35:36]
	v_add_f64 v[208:209], v[29:30], v[33:34]
	v_add_f64 v[210:211], v[21:22], -v[33:34]
	v_add_f64 v[214:215], v[23:24], -v[35:36]
	v_add_f64 v[172:173], v[172:173], v[4:5]
	v_add_f64 v[174:175], v[174:175], v[6:7]
	v_add_f64 v[4:5], v[4:5], -v[8:9]
	v_add_f64 v[6:7], v[6:7], -v[10:11]
	v_fma_f64 v[218:219], v[180:181], -0.5, v[0:1]
	v_fma_f64 v[0:1], v[37:38], -0.5, v[0:1]
	v_fma_f64 v[37:38], v[182:183], -0.5, v[2:3]
	v_fma_f64 v[2:3], v[152:153], -0.5, v[2:3]
	v_fma_f64 v[216:217], v[206:207], -0.5, v[19:20]
	v_add_f64 v[8:9], v[172:173], v[8:9]
	v_add_f64 v[10:11], v[174:175], v[10:11]
	;; [unrolled: 1-line block ×4, first 2 shown]
	v_add_f64 v[14:15], v[31:32], -v[14:15]
	v_add_f64 v[12:13], v[29:30], -v[12:13]
	v_fma_f64 v[19:20], v[194:195], -0.5, v[19:20]
	v_fma_f64 v[194:195], v[208:209], -0.5, v[17:18]
	;; [unrolled: 1-line block ×3, first 2 shown]
	v_add_f64 v[4:5], v[184:185], v[4:5]
	v_add_f64 v[6:7], v[186:187], v[6:7]
	v_fma_f64 v[184:185], v[25:26], s[8:9], v[2:3]
	v_fma_f64 v[2:3], v[25:26], s[10:11], v[2:3]
	v_fma_f64 v[152:153], v[200:201], s[10:11], v[216:217]
	v_add_f64 v[172:173], v[172:173], v[29:30]
	v_add_f64 v[174:175], v[174:175], v[31:32]
	v_add_f64 v[29:30], v[29:30], -v[33:34]
	v_add_f64 v[31:32], v[31:32], -v[35:36]
	v_fma_f64 v[184:185], v[192:193], s[14:15], v[184:185]
	v_fma_f64 v[2:3], v[192:193], s[12:13], v[2:3]
	v_add_f64 v[172:173], v[172:173], v[33:34]
	v_add_f64 v[174:175], v[174:175], v[35:36]
	v_add_f64 v[35:36], v[35:36], -v[23:24]
	v_add_f64 v[33:34], v[33:34], -v[21:22]
	v_fma_f64 v[152:153], v[29:30], s[14:15], v[152:153]
	v_fma_f64 v[186:187], v[6:7], s[16:17], v[184:185]
	v_fma_f64 v[2:3], v[6:7], s[16:17], v[2:3]
	v_add_f64 v[21:22], v[172:173], v[21:22]
	v_add_f64 v[23:24], v[174:175], v[23:24]
	;; [unrolled: 1-line block ×4, first 2 shown]
	v_fma_f64 v[33:34], v[29:30], s[8:9], v[19:20]
	v_fma_f64 v[35:36], v[31:32], s[10:11], v[17:18]
	;; [unrolled: 1-line block ×4, first 2 shown]
	v_add_f64 v[172:173], v[8:9], v[21:22]
	v_add_f64 v[174:175], v[10:11], v[23:24]
	v_add_f64 v[180:181], v[8:9], -v[21:22]
	v_add_f64 v[182:183], v[10:11], -v[23:24]
	v_add_f64 v[10:11], v[204:205], v[214:215]
	v_add_f64 v[21:22], v[176:177], v[188:189]
	v_fma_f64 v[176:177], v[202:203], s[8:9], v[194:195]
	v_add_f64 v[8:9], v[198:199], v[210:211]
	v_add_f64 v[23:24], v[178:179], v[190:191]
	v_fma_f64 v[188:189], v[192:193], s[10:11], v[37:38]
	v_fma_f64 v[33:34], v[200:201], s[14:15], v[33:34]
	;; [unrolled: 1-line block ×12, first 2 shown]
	v_mul_f64 v[178:179], v[152:153], s[12:13]
	v_fma_f64 v[176:177], v[8:9], s[16:17], v[176:177]
	v_fma_f64 v[188:189], v[23:24], s[16:17], v[188:189]
	v_mul_f64 v[6:7], v[14:15], s[20:21]
	s_delay_alu instid0(VALU_DEP_3) | instskip(SKIP_1) | instid1(VALU_DEP_3)
	v_fma_f64 v[178:179], v[176:177], s[18:19], v[178:179]
	v_mul_f64 v[176:177], v[176:177], s[14:15]
	v_fma_f64 v[6:7], v[12:13], s[10:11], v[6:7]
	s_delay_alu instid0(VALU_DEP_2) | instskip(SKIP_2) | instid1(VALU_DEP_3)
	v_fma_f64 v[152:153], v[152:153], s[18:19], v[176:177]
	v_fma_f64 v[176:177], v[154:155], s[8:9], v[218:219]
	s_mov_b32 s19, 0xbfe9e377
	v_add_f64 v[198:199], v[2:3], v[6:7]
	v_add_f64 v[190:191], v[2:3], -v[6:7]
	v_fma_f64 v[2:3], v[202:203], s[10:11], v[194:195]
	v_fma_f64 v[6:7], v[192:193], s[8:9], v[37:38]
	v_add_f64 v[206:207], v[188:189], v[152:153]
	v_fma_f64 v[176:177], v[27:28], s[12:13], v[176:177]
	s_delay_alu instid0(VALU_DEP_4) | instskip(NEXT) | instid1(VALU_DEP_4)
	v_fma_f64 v[2:3], v[31:32], s[14:15], v[2:3]
	v_fma_f64 v[6:7], v[25:26], s[12:13], v[6:7]
	s_delay_alu instid0(VALU_DEP_3) | instskip(NEXT) | instid1(VALU_DEP_3)
	v_fma_f64 v[176:177], v[21:22], s[16:17], v[176:177]
	v_fma_f64 v[2:3], v[8:9], s[16:17], v[2:3]
	s_delay_alu instid0(VALU_DEP_3) | instskip(NEXT) | instid1(VALU_DEP_3)
	v_fma_f64 v[6:7], v[23:24], s[16:17], v[6:7]
	v_add_f64 v[204:205], v[176:177], v[178:179]
	v_add_f64 v[176:177], v[176:177], -v[178:179]
	v_add_f64 v[178:179], v[188:189], -v[152:153]
	v_mul_f64 v[152:153], v[33:34], s[8:9]
	v_mul_f64 v[33:34], v[33:34], s[16:17]
	s_delay_alu instid0(VALU_DEP_2) | instskip(NEXT) | instid1(VALU_DEP_2)
	v_fma_f64 v[152:153], v[35:36], s[16:17], v[152:153]
	v_fma_f64 v[33:34], v[35:36], s[10:11], v[33:34]
	;; [unrolled: 1-line block ×4, first 2 shown]
	s_delay_alu instid0(VALU_DEP_3) | instskip(NEXT) | instid1(VALU_DEP_3)
	v_add_f64 v[210:211], v[186:187], v[33:34]
	v_fma_f64 v[35:36], v[154:155], s[12:13], v[35:36]
	s_delay_alu instid0(VALU_DEP_3) | instskip(SKIP_1) | instid1(VALU_DEP_3)
	v_fma_f64 v[0:1], v[154:155], s[14:15], v[0:1]
	v_add_f64 v[186:187], v[186:187], -v[33:34]
	v_fma_f64 v[35:36], v[4:5], s[16:17], v[35:36]
	s_delay_alu instid0(VALU_DEP_3) | instskip(SKIP_1) | instid1(VALU_DEP_3)
	v_fma_f64 v[0:1], v[4:5], s[16:17], v[0:1]
	v_mul_f64 v[4:5], v[14:15], s[8:9]
	v_add_f64 v[208:209], v[35:36], v[152:153]
	v_add_f64 v[184:185], v[35:36], -v[152:153]
	s_delay_alu instid0(VALU_DEP_3) | instskip(NEXT) | instid1(VALU_DEP_1)
	v_fma_f64 v[4:5], v[12:13], s[20:21], v[4:5]
	v_add_f64 v[196:197], v[0:1], v[4:5]
	v_add_f64 v[188:189], v[0:1], -v[4:5]
	v_fma_f64 v[0:1], v[200:201], s[8:9], v[216:217]
	v_fma_f64 v[4:5], v[154:155], s[10:11], v[218:219]
	s_delay_alu instid0(VALU_DEP_2) | instskip(NEXT) | instid1(VALU_DEP_2)
	v_fma_f64 v[0:1], v[29:30], s[12:13], v[0:1]
	v_fma_f64 v[4:5], v[27:28], s[14:15], v[4:5]
	s_delay_alu instid0(VALU_DEP_2) | instskip(NEXT) | instid1(VALU_DEP_2)
	v_fma_f64 v[0:1], v[10:11], s[16:17], v[0:1]
	v_fma_f64 v[4:5], v[21:22], s[16:17], v[4:5]
	s_delay_alu instid0(VALU_DEP_2) | instskip(SKIP_1) | instid1(VALU_DEP_2)
	v_mul_f64 v[8:9], v[0:1], s[12:13]
	v_mul_f64 v[0:1], v[0:1], s[18:19]
	v_fma_f64 v[8:9], v[2:3], s[18:19], v[8:9]
	s_delay_alu instid0(VALU_DEP_2) | instskip(NEXT) | instid1(VALU_DEP_2)
	v_fma_f64 v[0:1], v[2:3], s[14:15], v[0:1]
	v_add_f64 v[192:193], v[4:5], v[8:9]
	s_delay_alu instid0(VALU_DEP_2)
	v_add_f64 v[194:195], v[6:7], v[0:1]
	v_add_f64 v[200:201], v[4:5], -v[8:9]
	v_add_f64 v[202:203], v[6:7], -v[0:1]
	ds_store_b128 v16, v[172:175]
	ds_store_b128 v16, v[204:207] offset:16
	ds_store_b128 v16, v[208:211] offset:32
	ds_store_b128 v16, v[196:199] offset:48
	ds_store_b128 v16, v[180:183] offset:80
	ds_store_b128 v16, v[192:195] offset:64
	ds_store_b128 v16, v[176:179] offset:96
	ds_store_b128 v16, v[184:187] offset:112
	ds_store_b128 v16, v[188:191] offset:128
	ds_store_b128 v16, v[200:203] offset:144
	s_waitcnt lgkmcnt(0)
	s_barrier
	buffer_gl0_inv
	s_and_saveexec_b32 s1, vcc_lo
	s_cbranch_execz .LBB0_11
; %bb.10:
	ds_load_b128 v[172:175], v212
	ds_load_b128 v[204:207], v212 offset:2240
	ds_load_b128 v[208:211], v212 offset:4480
	;; [unrolled: 1-line block ×12, first 2 shown]
.LBB0_11:
	s_or_b32 exec_lo, exec_lo, s1
	s_waitcnt lgkmcnt(11)
	v_mul_f64 v[0:1], v[70:71], v[204:205]
	s_mov_b32 s38, 0x4267c47c
	s_mov_b32 s39, 0xbfddbe06
	;; [unrolled: 1-line block ×35, first 2 shown]
	s_delay_alu instid0(VALU_DEP_1) | instskip(SKIP_1) | instid1(VALU_DEP_1)
	v_fma_f64 v[152:153], v[68:69], v[206:207], -v[0:1]
	v_mul_f64 v[0:1], v[70:71], v[206:207]
	v_fma_f64 v[68:69], v[68:69], v[204:205], v[0:1]
	s_waitcnt lgkmcnt(0)
	v_mul_f64 v[0:1], v[126:127], v[168:169]
	s_delay_alu instid0(VALU_DEP_1) | instskip(SKIP_1) | instid1(VALU_DEP_1)
	v_fma_f64 v[4:5], v[124:125], v[170:171], -v[0:1]
	v_mul_f64 v[0:1], v[126:127], v[170:171]
	v_fma_f64 v[6:7], v[124:125], v[168:169], v[0:1]
	v_mul_f64 v[0:1], v[102:103], v[208:209]
	s_delay_alu instid0(VALU_DEP_2) | instskip(NEXT) | instid1(VALU_DEP_2)
	v_add_f64 v[231:232], v[68:69], v[6:7]
	v_fma_f64 v[8:9], v[100:101], v[210:211], -v[0:1]
	v_mul_f64 v[0:1], v[102:103], v[210:211]
	v_add_f64 v[239:240], v[68:69], -v[6:7]
	s_delay_alu instid0(VALU_DEP_2) | instskip(SKIP_1) | instid1(VALU_DEP_1)
	v_fma_f64 v[14:15], v[100:101], v[208:209], v[0:1]
	v_mul_f64 v[0:1], v[106:107], v[164:165]
	v_fma_f64 v[10:11], v[104:105], v[166:167], -v[0:1]
	v_mul_f64 v[0:1], v[106:107], v[166:167]
	s_delay_alu instid0(VALU_DEP_1) | instskip(SKIP_1) | instid1(VALU_DEP_1)
	v_fma_f64 v[12:13], v[104:105], v[164:165], v[0:1]
	v_mul_f64 v[0:1], v[82:83], v[196:197]
	v_fma_f64 v[16:17], v[80:81], v[198:199], -v[0:1]
	v_mul_f64 v[0:1], v[82:83], v[198:199]
	s_delay_alu instid0(VALU_DEP_1) | instskip(SKIP_1) | instid1(VALU_DEP_1)
	v_fma_f64 v[22:23], v[80:81], v[196:197], v[0:1]
	v_mul_f64 v[0:1], v[86:87], v[160:161]
	v_fma_f64 v[18:19], v[84:85], v[162:163], -v[0:1]
	v_mul_f64 v[0:1], v[86:87], v[162:163]
	v_add_f64 v[162:163], v[8:9], v[10:11]
	s_delay_alu instid0(VALU_DEP_3) | instskip(NEXT) | instid1(VALU_DEP_3)
	v_add_f64 v[164:165], v[16:17], -v[18:19]
	v_fma_f64 v[20:21], v[84:85], v[160:161], v[0:1]
	v_mul_f64 v[0:1], v[66:67], v[192:193]
	v_add_f64 v[166:167], v[16:17], v[18:19]
	v_mul_f64 v[241:242], v[162:163], s[18:19]
	v_mul_f64 v[235:236], v[164:165], s[28:29]
	v_add_f64 v[196:197], v[22:23], -v[20:21]
	v_fma_f64 v[24:25], v[64:65], v[194:195], -v[0:1]
	v_mul_f64 v[0:1], v[66:67], v[194:195]
	v_mul_f64 v[245:246], v[166:167], s[26:27]
	;; [unrolled: 1-line block ×5, first 2 shown]
	v_fma_f64 v[30:31], v[64:65], v[192:193], v[0:1]
	v_mul_f64 v[0:1], v[94:95], v[200:201]
	v_add_f64 v[192:193], v[22:23], v[20:21]
	s_delay_alu instid0(VALU_DEP_2) | instskip(SKIP_1) | instid1(VALU_DEP_2)
	v_fma_f64 v[26:27], v[92:93], v[202:203], -v[0:1]
	v_mul_f64 v[0:1], v[94:95], v[202:203]
	v_add_f64 v[170:171], v[24:25], -v[26:27]
	s_delay_alu instid0(VALU_DEP_2) | instskip(SKIP_2) | instid1(VALU_DEP_4)
	v_fma_f64 v[28:29], v[92:93], v[200:201], v[0:1]
	v_mul_f64 v[0:1], v[78:79], v[180:181]
	v_add_f64 v[210:211], v[24:25], v[26:27]
	v_mul_f64 v[243:244], v[170:171], s[36:37]
	s_delay_alu instid0(VALU_DEP_4) | instskip(NEXT) | instid1(VALU_DEP_4)
	v_add_f64 v[200:201], v[30:31], v[28:29]
	v_fma_f64 v[32:33], v[76:77], v[182:183], -v[0:1]
	v_mul_f64 v[0:1], v[78:79], v[182:183]
	v_add_f64 v[78:79], v[8:9], -v[10:11]
	v_add_f64 v[215:216], v[30:31], -v[28:29]
	v_mul_f64 v[253:254], v[210:211], s[22:23]
	v_mul_f64 v[102:103], v[210:211], s[26:27]
	;; [unrolled: 1-line block ×3, first 2 shown]
	v_fma_f64 v[38:39], v[76:77], v[180:181], v[0:1]
	v_mul_f64 v[0:1], v[98:99], v[188:189]
	v_add_f64 v[76:77], v[152:153], -v[4:5]
	v_mul_f64 v[2:3], v[78:79], s[10:11]
	v_mul_f64 v[233:234], v[78:79], s[20:21]
	;; [unrolled: 1-line block ×4, first 2 shown]
	v_fma_f64 v[34:35], v[96:97], v[190:191], -v[0:1]
	v_mul_f64 v[0:1], v[98:99], v[190:191]
	v_mul_f64 v[229:230], v[76:77], s[38:39]
	s_clause 0x8
	scratch_store_b64 off, v[2:3], off offset:388
	scratch_store_b64 off, v[4:5], off offset:204
	;; [unrolled: 1-line block ×9, first 2 shown]
	v_mul_f64 v[198:199], v[76:77], s[10:11]
	v_mul_f64 v[160:161], v[76:77], s[16:17]
	;; [unrolled: 1-line block ×5, first 2 shown]
	v_add_f64 v[217:218], v[32:33], -v[34:35]
	v_fma_f64 v[36:37], v[96:97], v[188:189], v[0:1]
	v_mul_f64 v[0:1], v[74:75], v[176:177]
	v_add_f64 v[96:97], v[152:153], v[4:5]
	v_add_f64 v[188:189], v[14:15], -v[12:13]
	v_mul_f64 v[4:5], v[162:163], s[8:9]
	v_add_f64 v[206:207], v[32:33], v[34:35]
	v_mul_f64 v[249:250], v[217:218], s[34:35]
	v_add_f64 v[208:209], v[38:39], v[36:37]
	v_fma_f64 v[66:67], v[72:73], v[178:179], -v[0:1]
	v_mul_f64 v[0:1], v[74:75], v[178:179]
	v_mul_f64 v[237:238], v[96:97], s[12:13]
	scratch_store_b64 off, v[4:5], off offset:396 ; 8-byte Folded Spill
	v_fma_f64 v[4:5], v[188:189], s[10:11], v[4:5]
	v_add_f64 v[223:224], v[38:39], -v[36:37]
	v_mul_f64 v[106:107], v[96:97], s[8:9]
	v_mul_f64 v[202:203], v[96:97], s[14:15]
	v_mul_f64 v[92:93], v[96:97], s[18:19]
	v_mul_f64 v[98:99], v[96:97], s[22:23]
	v_fma_f64 v[100:101], v[188:189], s[34:35], v[190:191]
	v_mul_f64 v[154:155], v[96:97], s[26:27]
	v_fma_f64 v[96:97], v[188:189], s[30:31], v[182:183]
	v_fma_f64 v[70:71], v[72:73], v[176:177], v[0:1]
	v_mul_f64 v[0:1], v[90:91], v[184:185]
	s_delay_alu instid0(VALU_DEP_1) | instskip(SKIP_3) | instid1(VALU_DEP_4)
	v_fma_f64 v[72:73], v[88:89], v[186:187], -v[0:1]
	v_mul_f64 v[0:1], v[90:91], v[186:187]
	v_mul_f64 v[90:91], v[78:79], s[34:35]
	;; [unrolled: 1-line block ×3, first 2 shown]
	v_add_f64 v[176:177], v[66:67], -v[72:73]
	s_delay_alu instid0(VALU_DEP_4)
	v_fma_f64 v[88:89], v[88:89], v[184:185], v[0:1]
	v_fma_f64 v[0:1], v[231:232], s[12:13], -v[229:230]
	v_add_f64 v[184:185], v[14:15], v[12:13]
	v_add_f64 v[178:179], v[66:67], v[72:73]
	v_mul_f64 v[251:252], v[176:177], s[30:31]
	v_add_f64 v[219:220], v[70:71], v[88:89]
	v_add_f64 v[0:1], v[172:173], v[0:1]
	v_fma_f64 v[2:3], v[184:185], s[8:9], -v[2:3]
	v_add_f64 v[227:228], v[70:71], -v[88:89]
	v_mul_f64 v[10:11], v[178:179], s[12:13]
	v_mul_f64 v[124:125], v[178:179], s[8:9]
	v_fma_f64 v[86:87], v[184:185], s[14:15], -v[90:91]
	v_mul_f64 v[168:169], v[176:177], s[20:21]
	v_mul_f64 v[194:195], v[178:179], s[18:19]
	v_add_f64 v[0:1], v[2:3], v[0:1]
	v_fma_f64 v[2:3], v[239:240], s[38:39], v[237:238]
	s_delay_alu instid0(VALU_DEP_1) | instskip(NEXT) | instid1(VALU_DEP_1)
	v_add_f64 v[2:3], v[174:175], v[2:3]
	v_add_f64 v[2:3], v[4:5], v[2:3]
	v_mul_f64 v[4:5], v[164:165], s[16:17]
	scratch_store_b64 off, v[4:5], off offset:404 ; 8-byte Folded Spill
	v_fma_f64 v[4:5], v[192:193], s[14:15], -v[4:5]
	s_clause 0x3
	scratch_store_b64 off, v[16:17], off offset:252
	scratch_store_b64 off, v[18:19], off offset:260
	;; [unrolled: 1-line block ×4, first 2 shown]
	v_add_f64 v[0:1], v[4:5], v[0:1]
	v_mul_f64 v[4:5], v[166:167], s[14:15]
	scratch_store_b64 off, v[4:5], off offset:412 ; 8-byte Folded Spill
	v_fma_f64 v[4:5], v[196:197], s[16:17], v[4:5]
	s_delay_alu instid0(VALU_DEP_1)
	v_add_f64 v[2:3], v[4:5], v[2:3]
	v_mul_f64 v[4:5], v[170:171], s[20:21]
	scratch_store_b64 off, v[4:5], off offset:420 ; 8-byte Folded Spill
	v_fma_f64 v[4:5], v[200:201], s[18:19], -v[4:5]
	s_clause 0x3
	scratch_store_b64 off, v[24:25], off offset:284
	scratch_store_b64 off, v[26:27], off offset:292
	;; [unrolled: 1-line block ×4, first 2 shown]
	v_mul_f64 v[28:29], v[162:163], s[22:23]
	v_add_f64 v[0:1], v[4:5], v[0:1]
	v_mul_f64 v[4:5], v[210:211], s[18:19]
	s_delay_alu instid0(VALU_DEP_3) | instskip(SKIP_2) | instid1(VALU_DEP_1)
	v_fma_f64 v[30:31], v[188:189], s[36:37], v[28:29]
	scratch_store_b64 off, v[4:5], off offset:436 ; 8-byte Folded Spill
	v_fma_f64 v[4:5], v[215:216], s[20:21], v[4:5]
	v_add_f64 v[2:3], v[4:5], v[2:3]
	v_mul_f64 v[4:5], v[217:218], s[24:25]
	scratch_store_b64 off, v[4:5], off offset:428 ; 8-byte Folded Spill
	v_fma_f64 v[4:5], v[208:209], s[22:23], -v[4:5]
	s_clause 0x3
	scratch_store_b64 off, v[32:33], off offset:316
	scratch_store_b64 off, v[34:35], off offset:324
	;; [unrolled: 1-line block ×4, first 2 shown]
	v_add_f64 v[0:1], v[4:5], v[0:1]
	v_mul_f64 v[4:5], v[206:207], s[22:23]
	scratch_store_b64 off, v[4:5], off offset:452 ; 8-byte Folded Spill
	v_fma_f64 v[4:5], v[223:224], s[24:25], v[4:5]
	s_delay_alu instid0(VALU_DEP_1)
	v_add_f64 v[2:3], v[4:5], v[2:3]
	v_mul_f64 v[4:5], v[176:177], s[28:29]
	scratch_store_b64 off, v[4:5], off offset:444 ; 8-byte Folded Spill
	v_fma_f64 v[4:5], v[219:220], s[26:27], -v[4:5]
	s_clause 0x1
	scratch_store_b64 off, v[66:67], off offset:348
	scratch_store_b64 off, v[72:73], off offset:380
	v_add_f64 v[64:65], v[4:5], v[0:1]
	v_mul_f64 v[0:1], v[178:179], s[26:27]
	scratch_store_b64 off, v[70:71], off offset:372 ; 8-byte Folded Spill
	v_fma_f64 v[4:5], v[188:189], s[20:21], v[241:242]
	scratch_store_b64 off, v[0:1], off offset:460 ; 8-byte Folded Spill
	v_fma_f64 v[0:1], v[227:228], s[28:29], v[0:1]
	s_waitcnt_vscnt null, 0x0
	s_barrier
	buffer_gl0_inv
	v_add_f64 v[66:67], v[0:1], v[2:3]
	v_fma_f64 v[0:1], v[231:232], s[8:9], -v[198:199]
	v_fma_f64 v[2:3], v[184:185], s[18:19], -v[233:234]
	s_delay_alu instid0(VALU_DEP_2) | instskip(NEXT) | instid1(VALU_DEP_1)
	v_add_f64 v[0:1], v[172:173], v[0:1]
	v_add_f64 v[0:1], v[2:3], v[0:1]
	v_fma_f64 v[2:3], v[239:240], s[10:11], v[106:107]
	s_delay_alu instid0(VALU_DEP_1) | instskip(NEXT) | instid1(VALU_DEP_1)
	v_add_f64 v[2:3], v[174:175], v[2:3]
	v_add_f64 v[2:3], v[4:5], v[2:3]
	v_fma_f64 v[4:5], v[192:193], s[26:27], -v[235:236]
	s_delay_alu instid0(VALU_DEP_1) | instskip(SKIP_1) | instid1(VALU_DEP_1)
	v_add_f64 v[0:1], v[4:5], v[0:1]
	v_fma_f64 v[4:5], v[196:197], s[28:29], v[245:246]
	v_add_f64 v[2:3], v[4:5], v[2:3]
	v_fma_f64 v[4:5], v[200:201], s[22:23], -v[243:244]
	s_delay_alu instid0(VALU_DEP_1) | instskip(SKIP_1) | instid1(VALU_DEP_1)
	v_add_f64 v[0:1], v[4:5], v[0:1]
	v_fma_f64 v[4:5], v[215:216], s[36:37], v[253:254]
	v_add_f64 v[4:5], v[4:5], v[2:3]
	v_fma_f64 v[2:3], v[208:209], s[14:15], -v[249:250]
	s_delay_alu instid0(VALU_DEP_1) | instskip(SKIP_1) | instid1(VALU_DEP_1)
	v_add_f64 v[0:1], v[2:3], v[0:1]
	v_mul_f64 v[2:3], v[206:207], s[14:15]
	v_fma_f64 v[6:7], v[223:224], s[34:35], v[2:3]
	s_delay_alu instid0(VALU_DEP_1) | instskip(SKIP_1) | instid1(VALU_DEP_1)
	v_add_f64 v[4:5], v[6:7], v[4:5]
	v_fma_f64 v[6:7], v[219:220], s[12:13], -v[251:252]
	v_add_f64 v[68:69], v[6:7], v[0:1]
	v_fma_f64 v[0:1], v[227:228], s[30:31], v[10:11]
	s_delay_alu instid0(VALU_DEP_1) | instskip(SKIP_2) | instid1(VALU_DEP_2)
	v_add_f64 v[70:71], v[0:1], v[4:5]
	v_fma_f64 v[0:1], v[231:232], s[14:15], -v[160:161]
	v_fma_f64 v[4:5], v[184:185], s[26:27], -v[247:248]
	v_add_f64 v[0:1], v[172:173], v[0:1]
	s_delay_alu instid0(VALU_DEP_1) | instskip(SKIP_2) | instid1(VALU_DEP_2)
	v_add_f64 v[6:7], v[4:5], v[0:1]
	v_fma_f64 v[0:1], v[239:240], s[16:17], v[202:203]
	v_mul_f64 v[4:5], v[162:163], s[26:27]
	v_add_f64 v[0:1], v[174:175], v[0:1]
	s_delay_alu instid0(VALU_DEP_2) | instskip(NEXT) | instid1(VALU_DEP_1)
	v_fma_f64 v[8:9], v[188:189], s[28:29], v[4:5]
	v_add_f64 v[8:9], v[8:9], v[0:1]
	v_mul_f64 v[0:1], v[164:165], s[40:41]
	s_delay_alu instid0(VALU_DEP_1) | instskip(NEXT) | instid1(VALU_DEP_1)
	v_fma_f64 v[12:13], v[192:193], s[18:19], -v[0:1]
	v_add_f64 v[14:15], v[12:13], v[6:7]
	v_mul_f64 v[12:13], v[166:167], s[18:19]
	s_delay_alu instid0(VALU_DEP_1) | instskip(NEXT) | instid1(VALU_DEP_1)
	v_fma_f64 v[6:7], v[196:197], s[40:41], v[12:13]
	v_add_f64 v[8:9], v[6:7], v[8:9]
	v_mul_f64 v[6:7], v[170:171], s[30:31]
	s_delay_alu instid0(VALU_DEP_1) | instskip(NEXT) | instid1(VALU_DEP_1)
	v_fma_f64 v[16:17], v[200:201], s[12:13], -v[6:7]
	v_add_f64 v[16:17], v[16:17], v[14:15]
	v_mul_f64 v[14:15], v[210:211], s[12:13]
	s_delay_alu instid0(VALU_DEP_1) | instskip(NEXT) | instid1(VALU_DEP_1)
	;; [unrolled: 8-line block ×4, first 2 shown]
	v_fma_f64 v[22:23], v[227:228], s[24:25], v[24:25]
	v_add_f64 v[74:75], v[22:23], v[20:21]
	v_fma_f64 v[20:21], v[231:232], s[18:19], -v[221:222]
	s_delay_alu instid0(VALU_DEP_1) | instskip(SKIP_2) | instid1(VALU_DEP_2)
	v_add_f64 v[22:23], v[172:173], v[20:21]
	v_mul_f64 v[20:21], v[78:79], s[36:37]
	v_fma_f64 v[78:79], v[184:185], s[12:13], -v[180:181]
	v_fma_f64 v[26:27], v[184:185], s[22:23], -v[20:21]
	s_delay_alu instid0(VALU_DEP_1) | instskip(SKIP_1) | instid1(VALU_DEP_1)
	v_add_f64 v[26:27], v[26:27], v[22:23]
	v_fma_f64 v[22:23], v[239:240], s[20:21], v[92:93]
	v_add_f64 v[22:23], v[174:175], v[22:23]
	s_delay_alu instid0(VALU_DEP_1) | instskip(SKIP_1) | instid1(VALU_DEP_1)
	v_add_f64 v[30:31], v[30:31], v[22:23]
	v_mul_f64 v[22:23], v[164:165], s[30:31]
	v_fma_f64 v[32:33], v[192:193], s[12:13], -v[22:23]
	s_delay_alu instid0(VALU_DEP_1) | instskip(SKIP_1) | instid1(VALU_DEP_1)
	v_add_f64 v[34:35], v[32:33], v[26:27]
	v_mul_f64 v[32:33], v[166:167], s[12:13]
	v_fma_f64 v[26:27], v[196:197], s[30:31], v[32:33]
	s_delay_alu instid0(VALU_DEP_1) | instskip(SKIP_1) | instid1(VALU_DEP_1)
	v_add_f64 v[30:31], v[26:27], v[30:31]
	v_mul_f64 v[26:27], v[170:171], s[16:17]
	v_fma_f64 v[36:37], v[200:201], s[14:15], -v[26:27]
	s_delay_alu instid0(VALU_DEP_1) | instskip(SKIP_1) | instid1(VALU_DEP_1)
	v_add_f64 v[36:37], v[36:37], v[34:35]
	v_mul_f64 v[34:35], v[210:211], s[14:15]
	v_fma_f64 v[38:39], v[215:216], s[16:17], v[34:35]
	;; [unrolled: 8-line block ×3, first 2 shown]
	s_delay_alu instid0(VALU_DEP_1) | instskip(SKIP_1) | instid1(VALU_DEP_1)
	v_add_f64 v[84:85], v[36:37], v[80:81]
	v_mul_f64 v[36:37], v[176:177], s[44:45]
	v_fma_f64 v[80:81], v[219:220], s[8:9], -v[36:37]
	s_delay_alu instid0(VALU_DEP_1) | instskip(SKIP_1) | instid1(VALU_DEP_1)
	v_add_f64 v[80:81], v[80:81], v[82:83]
	v_fma_f64 v[82:83], v[227:228], s[44:45], v[124:125]
	v_add_f64 v[82:83], v[82:83], v[84:85]
	v_fma_f64 v[84:85], v[231:232], s[22:23], -v[94:95]
	s_delay_alu instid0(VALU_DEP_1) | instskip(NEXT) | instid1(VALU_DEP_1)
	v_add_f64 v[84:85], v[172:173], v[84:85]
	v_add_f64 v[84:85], v[86:87], v[84:85]
	v_fma_f64 v[86:87], v[239:240], s[24:25], v[98:99]
	s_delay_alu instid0(VALU_DEP_1) | instskip(NEXT) | instid1(VALU_DEP_1)
	v_add_f64 v[86:87], v[174:175], v[86:87]
	v_add_f64 v[86:87], v[100:101], v[86:87]
	v_fma_f64 v[100:101], v[192:193], s[8:9], -v[204:205]
	s_delay_alu instid0(VALU_DEP_1) | instskip(SKIP_1) | instid1(VALU_DEP_1)
	v_add_f64 v[84:85], v[100:101], v[84:85]
	v_fma_f64 v[100:101], v[196:197], s[10:11], v[126:127]
	v_add_f64 v[86:87], v[100:101], v[86:87]
	v_fma_f64 v[100:101], v[200:201], s[26:27], -v[186:187]
	s_delay_alu instid0(VALU_DEP_1) | instskip(SKIP_1) | instid1(VALU_DEP_1)
	v_add_f64 v[84:85], v[100:101], v[84:85]
	v_fma_f64 v[100:101], v[215:216], s[42:43], v[102:103]
	v_add_f64 v[86:87], v[100:101], v[86:87]
	v_mul_f64 v[100:101], v[217:218], s[30:31]
	s_delay_alu instid0(VALU_DEP_1) | instskip(NEXT) | instid1(VALU_DEP_1)
	v_fma_f64 v[104:105], v[208:209], s[12:13], -v[100:101]
	v_add_f64 v[84:85], v[104:105], v[84:85]
	v_mul_f64 v[104:105], v[206:207], s[12:13]
	s_delay_alu instid0(VALU_DEP_1) | instskip(NEXT) | instid1(VALU_DEP_1)
	v_fma_f64 v[152:153], v[223:224], s[30:31], v[104:105]
	v_add_f64 v[86:87], v[152:153], v[86:87]
	v_fma_f64 v[152:153], v[219:220], s[18:19], -v[168:169]
	s_delay_alu instid0(VALU_DEP_1) | instskip(SKIP_1) | instid1(VALU_DEP_1)
	v_add_f64 v[84:85], v[152:153], v[84:85]
	v_fma_f64 v[152:153], v[227:228], s[20:21], v[194:195]
	v_add_f64 v[86:87], v[152:153], v[86:87]
	v_mul_f64 v[152:153], v[76:77], s[28:29]
	s_delay_alu instid0(VALU_DEP_1) | instskip(NEXT) | instid1(VALU_DEP_1)
	v_fma_f64 v[76:77], v[231:232], s[26:27], -v[152:153]
	v_add_f64 v[76:77], v[172:173], v[76:77]
	s_delay_alu instid0(VALU_DEP_1) | instskip(SKIP_1) | instid1(VALU_DEP_1)
	v_add_f64 v[76:77], v[78:79], v[76:77]
	v_fma_f64 v[78:79], v[239:240], s[28:29], v[154:155]
	v_add_f64 v[78:79], v[174:175], v[78:79]
	s_delay_alu instid0(VALU_DEP_1) | instskip(SKIP_1) | instid1(VALU_DEP_1)
	v_add_f64 v[78:79], v[96:97], v[78:79]
	v_fma_f64 v[96:97], v[192:193], s[22:23], -v[225:226]
	v_add_f64 v[76:77], v[96:97], v[76:77]
	v_mul_f64 v[96:97], v[166:167], s[22:23]
	v_mul_f64 v[166:167], v[170:171], s[44:45]
	;; [unrolled: 1-line block ×4, first 2 shown]
	s_delay_alu instid0(VALU_DEP_4) | instskip(NEXT) | instid1(VALU_DEP_2)
	v_fma_f64 v[162:163], v[196:197], s[24:25], v[96:97]
	v_fma_f64 v[176:177], v[219:220], s[14:15], -v[210:211]
	s_delay_alu instid0(VALU_DEP_2) | instskip(SKIP_1) | instid1(VALU_DEP_1)
	v_add_f64 v[78:79], v[162:163], v[78:79]
	v_fma_f64 v[162:163], v[200:201], s[8:9], -v[166:167]
	v_add_f64 v[76:77], v[162:163], v[76:77]
	v_fma_f64 v[162:163], v[215:216], s[44:45], v[170:171]
	s_delay_alu instid0(VALU_DEP_1) | instskip(SKIP_2) | instid1(VALU_DEP_2)
	v_add_f64 v[78:79], v[162:163], v[78:79]
	v_mul_f64 v[162:163], v[217:218], s[20:21]
	v_mul_f64 v[217:218], v[206:207], s[18:19]
	v_fma_f64 v[164:165], v[208:209], s[18:19], -v[162:163]
	s_delay_alu instid0(VALU_DEP_1) | instskip(NEXT) | instid1(VALU_DEP_3)
	v_add_f64 v[76:77], v[164:165], v[76:77]
	v_fma_f64 v[164:165], v[223:224], s[20:21], v[217:218]
	s_delay_alu instid0(VALU_DEP_2) | instskip(NEXT) | instid1(VALU_DEP_2)
	v_add_f64 v[76:77], v[176:177], v[76:77]
	v_add_f64 v[78:79], v[164:165], v[78:79]
	v_mul_f64 v[164:165], v[178:179], s[14:15]
	s_delay_alu instid0(VALU_DEP_1) | instskip(NEXT) | instid1(VALU_DEP_1)
	v_fma_f64 v[176:177], v[227:228], s[34:35], v[164:165]
	v_add_f64 v[78:79], v[176:177], v[78:79]
	s_and_saveexec_b32 s1, vcc_lo
	s_cbranch_execz .LBB0_13
; %bb.12:
	v_mul_f64 v[178:179], v[239:240], s[16:17]
	v_mul_f64 v[176:177], v[239:240], s[28:29]
	;; [unrolled: 1-line block ×3, first 2 shown]
	s_delay_alu instid0(VALU_DEP_3) | instskip(SKIP_1) | instid1(VALU_DEP_4)
	v_add_f64 v[178:179], v[202:203], -v[178:179]
	v_mul_f64 v[202:203], v[231:232], s[14:15]
	v_add_f64 v[154:155], v[154:155], -v[176:177]
	v_mul_f64 v[176:177], v[231:232], s[26:27]
	v_add_f64 v[206:207], v[206:207], v[229:230]
	scratch_load_b64 v[229:230], off, off offset:364 ; 8-byte Folded Reload
	v_add_f64 v[178:179], v[174:175], v[178:179]
	v_add_f64 v[160:161], v[202:203], v[160:161]
	v_mul_f64 v[202:203], v[239:240], s[10:11]
	v_add_f64 v[152:153], v[176:177], v[152:153]
	v_mul_f64 v[176:177], v[239:240], s[24:25]
	v_add_f64 v[154:155], v[174:175], v[154:155]
	v_add_f64 v[160:161], v[172:173], v[160:161]
	v_add_f64 v[106:107], v[106:107], -v[202:203]
	v_mul_f64 v[202:203], v[231:232], s[8:9]
	v_add_f64 v[98:99], v[98:99], -v[176:177]
	v_mul_f64 v[176:177], v[239:240], s[20:21]
	v_add_f64 v[152:153], v[172:173], v[152:153]
	s_delay_alu instid0(VALU_DEP_4) | instskip(SKIP_1) | instid1(VALU_DEP_4)
	v_add_f64 v[198:199], v[202:203], v[198:199]
	v_mul_f64 v[202:203], v[231:232], s[22:23]
	v_add_f64 v[92:93], v[92:93], -v[176:177]
	v_mul_f64 v[176:177], v[231:232], s[18:19]
	v_add_f64 v[231:232], v[174:175], v[98:99]
	v_add_f64 v[98:99], v[174:175], v[106:107]
	;; [unrolled: 1-line block ×4, first 2 shown]
	v_mul_f64 v[202:203], v[239:240], s[38:39]
	v_add_f64 v[176:177], v[176:177], v[221:222]
	scratch_load_b64 v[221:222], off, off offset:356 ; 8-byte Folded Reload
	v_add_f64 v[198:199], v[172:173], v[94:95]
	v_add_f64 v[202:203], v[237:238], -v[202:203]
	v_add_f64 v[237:238], v[174:175], v[92:93]
	v_mul_f64 v[92:93], v[188:189], s[30:31]
	v_mul_f64 v[94:95], v[184:185], s[12:13]
	v_add_f64 v[176:177], v[172:173], v[176:177]
	s_delay_alu instid0(VALU_DEP_3) | instskip(NEXT) | instid1(VALU_DEP_3)
	v_add_f64 v[92:93], v[182:183], -v[92:93]
	v_add_f64 v[94:95], v[94:95], v[180:181]
	v_mul_f64 v[180:181], v[196:197], s[24:25]
	v_mul_f64 v[182:183], v[215:216], s[44:45]
	s_delay_alu instid0(VALU_DEP_4) | instskip(NEXT) | instid1(VALU_DEP_4)
	v_add_f64 v[92:93], v[92:93], v[154:155]
	v_add_f64 v[94:95], v[94:95], v[152:153]
	s_delay_alu instid0(VALU_DEP_4)
	v_add_f64 v[96:97], v[96:97], -v[180:181]
	v_mul_f64 v[180:181], v[192:193], s[22:23]
	v_add_f64 v[170:171], v[170:171], -v[182:183]
	v_mul_f64 v[182:183], v[200:201], s[8:9]
	v_mul_f64 v[152:153], v[208:209], s[18:19]
	;; [unrolled: 1-line block ×3, first 2 shown]
	v_add_f64 v[92:93], v[96:97], v[92:93]
	v_add_f64 v[180:181], v[180:181], v[225:226]
	v_mul_f64 v[96:97], v[227:228], s[34:35]
	v_add_f64 v[166:167], v[182:183], v[166:167]
	v_mul_f64 v[182:183], v[223:224], s[20:21]
	v_add_f64 v[152:153], v[152:153], v[162:163]
	v_add_f64 v[154:155], v[154:155], v[210:211]
	v_mul_f64 v[162:163], v[192:193], s[26:27]
	v_add_f64 v[92:93], v[170:171], v[92:93]
	v_add_f64 v[94:95], v[180:181], v[94:95]
	v_add_f64 v[96:97], v[164:165], -v[96:97]
	v_mul_f64 v[164:165], v[215:216], s[36:37]
	v_add_f64 v[182:183], v[217:218], -v[182:183]
	v_mul_f64 v[170:171], v[223:224], s[34:35]
	v_add_f64 v[162:163], v[162:163], v[235:236]
	v_add_f64 v[94:95], v[166:167], v[94:95]
	v_mul_f64 v[166:167], v[200:201], s[22:23]
	v_add_f64 v[164:165], v[253:254], -v[164:165]
	v_add_f64 v[92:93], v[182:183], v[92:93]
	v_add_f64 v[2:3], v[2:3], -v[170:171]
	v_add_f64 v[152:153], v[152:153], v[94:95]
	v_add_f64 v[166:167], v[166:167], v[243:244]
	s_delay_alu instid0(VALU_DEP_4) | instskip(SKIP_1) | instid1(VALU_DEP_4)
	v_add_f64 v[94:95], v[96:97], v[92:93]
	v_mul_f64 v[96:97], v[188:189], s[20:21]
	v_add_f64 v[92:93], v[154:155], v[152:153]
	v_mul_f64 v[152:153], v[184:185], s[18:19]
	v_mul_f64 v[154:155], v[196:197], s[28:29]
	s_delay_alu instid0(VALU_DEP_4) | instskip(NEXT) | instid1(VALU_DEP_3)
	v_add_f64 v[96:97], v[241:242], -v[96:97]
	v_add_f64 v[152:153], v[152:153], v[233:234]
	s_delay_alu instid0(VALU_DEP_3) | instskip(NEXT) | instid1(VALU_DEP_3)
	v_add_f64 v[154:155], v[245:246], -v[154:155]
	v_add_f64 v[96:97], v[96:97], v[98:99]
	s_delay_alu instid0(VALU_DEP_3) | instskip(SKIP_2) | instid1(VALU_DEP_4)
	v_add_f64 v[98:99], v[152:153], v[106:107]
	v_mul_f64 v[106:107], v[208:209], s[14:15]
	v_mul_f64 v[152:153], v[227:228], s[30:31]
	v_add_f64 v[96:97], v[154:155], v[96:97]
	s_delay_alu instid0(VALU_DEP_4) | instskip(NEXT) | instid1(VALU_DEP_4)
	v_add_f64 v[98:99], v[162:163], v[98:99]
	v_add_f64 v[106:107], v[106:107], v[249:250]
	s_delay_alu instid0(VALU_DEP_4) | instskip(NEXT) | instid1(VALU_DEP_4)
	v_add_f64 v[10:11], v[10:11], -v[152:153]
	v_add_f64 v[96:97], v[164:165], v[96:97]
	v_mul_f64 v[152:153], v[219:220], s[12:13]
	v_add_f64 v[98:99], v[166:167], v[98:99]
	s_delay_alu instid0(VALU_DEP_3) | instskip(NEXT) | instid1(VALU_DEP_3)
	v_add_f64 v[2:3], v[2:3], v[96:97]
	v_add_f64 v[152:153], v[152:153], v[251:252]
	s_delay_alu instid0(VALU_DEP_3) | instskip(NEXT) | instid1(VALU_DEP_3)
	v_add_f64 v[96:97], v[106:107], v[98:99]
	v_add_f64 v[98:99], v[10:11], v[2:3]
	v_mul_f64 v[10:11], v[196:197], s[40:41]
	v_mul_f64 v[2:3], v[188:189], s[28:29]
	s_delay_alu instid0(VALU_DEP_4) | instskip(NEXT) | instid1(VALU_DEP_3)
	v_add_f64 v[96:97], v[152:153], v[96:97]
	v_add_f64 v[10:11], v[12:13], -v[10:11]
	v_mul_f64 v[12:13], v[192:193], s[18:19]
	s_delay_alu instid0(VALU_DEP_4) | instskip(SKIP_1) | instid1(VALU_DEP_3)
	v_add_f64 v[2:3], v[4:5], -v[2:3]
	v_mul_f64 v[4:5], v[184:185], s[26:27]
	v_add_f64 v[0:1], v[12:13], v[0:1]
	v_mul_f64 v[12:13], v[215:216], s[30:31]
	s_delay_alu instid0(VALU_DEP_3) | instskip(SKIP_1) | instid1(VALU_DEP_3)
	v_add_f64 v[4:5], v[4:5], v[247:248]
	v_add_f64 v[2:3], v[2:3], v[178:179]
	v_add_f64 v[12:13], v[14:15], -v[12:13]
	v_mul_f64 v[14:15], v[200:201], s[12:13]
	s_delay_alu instid0(VALU_DEP_4) | instskip(NEXT) | instid1(VALU_DEP_4)
	v_add_f64 v[4:5], v[4:5], v[160:161]
	v_add_f64 v[2:3], v[10:11], v[2:3]
	v_mul_f64 v[10:11], v[192:193], s[12:13]
	s_delay_alu instid0(VALU_DEP_4)
	v_add_f64 v[6:7], v[14:15], v[6:7]
	v_mul_f64 v[14:15], v[223:224], s[10:11]
	v_add_f64 v[0:1], v[0:1], v[4:5]
	v_mul_f64 v[4:5], v[227:228], s[24:25]
	v_add_f64 v[2:3], v[12:13], v[2:3]
	v_add_f64 v[10:11], v[10:11], v[22:23]
	v_mul_f64 v[12:13], v[215:216], s[16:17]
	v_mul_f64 v[22:23], v[208:209], s[12:13]
	v_add_f64 v[14:15], v[18:19], -v[14:15]
	v_mul_f64 v[18:19], v[208:209], s[8:9]
	v_add_f64 v[0:1], v[6:7], v[0:1]
	v_mul_f64 v[6:7], v[219:220], s[22:23]
	v_add_f64 v[4:5], v[24:25], -v[4:5]
	v_add_f64 v[12:13], v[34:35], -v[12:13]
	v_add_f64 v[22:23], v[22:23], v[100:101]
	scratch_load_b64 v[24:25], off, off offset:420 ; 8-byte Folded Reload
	v_add_f64 v[2:3], v[14:15], v[2:3]
	v_add_f64 v[8:9], v[18:19], v[8:9]
	v_mul_f64 v[14:15], v[200:201], s[14:15]
	v_add_f64 v[6:7], v[6:7], v[16:17]
	v_mul_f64 v[16:17], v[223:224], s[42:43]
	v_mul_f64 v[18:19], v[208:209], s[26:27]
	v_add_f64 v[2:3], v[4:5], v[2:3]
	v_add_f64 v[0:1], v[8:9], v[0:1]
	v_mul_f64 v[4:5], v[188:189], s[36:37]
	v_mul_f64 v[8:9], v[196:197], s[30:31]
	v_add_f64 v[14:15], v[14:15], v[26:27]
	v_add_f64 v[16:17], v[38:39], -v[16:17]
	v_add_f64 v[18:19], v[18:19], v[30:31]
	scratch_load_b64 v[26:27], off, off offset:452 ; 8-byte Folded Reload
	v_add_f64 v[0:1], v[6:7], v[0:1]
	v_mul_f64 v[6:7], v[184:185], s[22:23]
	v_add_f64 v[4:5], v[28:29], -v[4:5]
	scratch_load_b64 v[28:29], off, off offset:428 ; 8-byte Folded Reload
	v_add_f64 v[8:9], v[32:33], -v[8:9]
	v_add_f64 v[6:7], v[6:7], v[20:21]
	v_add_f64 v[4:5], v[4:5], v[237:238]
	v_mul_f64 v[20:21], v[223:224], s[30:31]
	s_delay_alu instid0(VALU_DEP_3) | instskip(NEXT) | instid1(VALU_DEP_3)
	v_add_f64 v[6:7], v[6:7], v[176:177]
	v_add_f64 v[4:5], v[8:9], v[4:5]
	v_mul_f64 v[8:9], v[227:228], s[44:45]
	s_delay_alu instid0(VALU_DEP_4) | instskip(NEXT) | instid1(VALU_DEP_4)
	v_add_f64 v[20:21], v[104:105], -v[20:21]
	v_add_f64 v[6:7], v[10:11], v[6:7]
	s_delay_alu instid0(VALU_DEP_4) | instskip(SKIP_2) | instid1(VALU_DEP_4)
	v_add_f64 v[4:5], v[12:13], v[4:5]
	v_mul_f64 v[10:11], v[219:220], s[8:9]
	v_add_f64 v[8:9], v[124:125], -v[8:9]
	v_add_f64 v[6:7], v[14:15], v[6:7]
	s_delay_alu instid0(VALU_DEP_4) | instskip(NEXT) | instid1(VALU_DEP_4)
	v_add_f64 v[4:5], v[16:17], v[4:5]
	v_add_f64 v[10:11], v[10:11], v[36:37]
	v_mul_f64 v[14:15], v[192:193], s[8:9]
	v_mul_f64 v[16:17], v[215:216], s[42:43]
	v_add_f64 v[12:13], v[18:19], v[6:7]
	v_add_f64 v[6:7], v[8:9], v[4:5]
	v_mul_f64 v[8:9], v[188:189], s[34:35]
	v_add_f64 v[14:15], v[14:15], v[204:205]
	v_mul_f64 v[18:19], v[200:201], s[26:27]
	v_add_f64 v[16:17], v[102:103], -v[16:17]
	v_add_f64 v[4:5], v[10:11], v[12:13]
	v_mul_f64 v[10:11], v[184:185], s[14:15]
	v_add_f64 v[8:9], v[190:191], -v[8:9]
	v_mul_f64 v[12:13], v[196:197], s[10:11]
	v_add_f64 v[18:19], v[18:19], v[186:187]
	s_delay_alu instid0(VALU_DEP_4) | instskip(NEXT) | instid1(VALU_DEP_4)
	v_add_f64 v[10:11], v[10:11], v[90:91]
	v_add_f64 v[8:9], v[8:9], v[231:232]
	s_delay_alu instid0(VALU_DEP_4) | instskip(NEXT) | instid1(VALU_DEP_3)
	v_add_f64 v[12:13], v[126:127], -v[12:13]
	v_add_f64 v[10:11], v[10:11], v[198:199]
	s_delay_alu instid0(VALU_DEP_2) | instskip(SKIP_1) | instid1(VALU_DEP_3)
	v_add_f64 v[8:9], v[12:13], v[8:9]
	v_mul_f64 v[12:13], v[227:228], s[20:21]
	v_add_f64 v[10:11], v[14:15], v[10:11]
	v_mul_f64 v[14:15], v[219:220], s[18:19]
	s_delay_alu instid0(VALU_DEP_4) | instskip(NEXT) | instid1(VALU_DEP_4)
	v_add_f64 v[8:9], v[16:17], v[8:9]
	v_add_f64 v[12:13], v[194:195], -v[12:13]
	s_delay_alu instid0(VALU_DEP_4) | instskip(NEXT) | instid1(VALU_DEP_4)
	v_add_f64 v[10:11], v[18:19], v[10:11]
	v_add_f64 v[14:15], v[14:15], v[168:169]
	s_delay_alu instid0(VALU_DEP_4)
	v_add_f64 v[8:9], v[20:21], v[8:9]
	s_clause 0x1
	scratch_load_b64 v[18:19], off, off offset:412
	scratch_load_b64 v[20:21], off, off offset:404
	v_add_f64 v[16:17], v[22:23], v[10:11]
	scratch_load_b64 v[22:23], off, off offset:436 ; 8-byte Folded Reload
	v_add_f64 v[10:11], v[12:13], v[8:9]
	v_mul_f64 v[12:13], v[188:189], s[10:11]
	v_add_f64 v[8:9], v[14:15], v[16:17]
	s_clause 0x1
	scratch_load_b64 v[14:15], off, off offset:396
	scratch_load_b64 v[16:17], off, off offset:388
	s_waitcnt vmcnt(8)
	v_add_f64 v[221:222], v[174:175], v[221:222]
	v_add_f64 v[229:230], v[172:173], v[229:230]
	v_add_f64 v[174:175], v[174:175], v[202:203]
	v_add_f64 v[172:173], v[172:173], v[206:207]
	s_waitcnt vmcnt(1)
	v_add_f64 v[12:13], v[14:15], -v[12:13]
	v_mul_f64 v[14:15], v[184:185], s[8:9]
	s_delay_alu instid0(VALU_DEP_2) | instskip(SKIP_1) | instid1(VALU_DEP_2)
	v_add_f64 v[12:13], v[12:13], v[174:175]
	s_waitcnt vmcnt(0)
	v_add_f64 v[14:15], v[14:15], v[16:17]
	v_mul_f64 v[16:17], v[196:197], s[16:17]
	s_delay_alu instid0(VALU_DEP_2) | instskip(NEXT) | instid1(VALU_DEP_2)
	v_add_f64 v[14:15], v[14:15], v[172:173]
	v_add_f64 v[16:17], v[18:19], -v[16:17]
	v_mul_f64 v[18:19], v[192:193], s[14:15]
	s_delay_alu instid0(VALU_DEP_2) | instskip(NEXT) | instid1(VALU_DEP_2)
	v_add_f64 v[12:13], v[16:17], v[12:13]
	v_add_f64 v[18:19], v[18:19], v[20:21]
	v_mul_f64 v[20:21], v[215:216], s[20:21]
	v_mul_f64 v[16:17], v[227:228], s[28:29]
	s_delay_alu instid0(VALU_DEP_3) | instskip(NEXT) | instid1(VALU_DEP_3)
	v_add_f64 v[14:15], v[18:19], v[14:15]
	v_add_f64 v[20:21], v[22:23], -v[20:21]
	scratch_load_b64 v[18:19], off, off offset:460 ; 8-byte Folded Reload
	v_mul_f64 v[22:23], v[200:201], s[18:19]
	v_add_f64 v[12:13], v[20:21], v[12:13]
	scratch_load_b64 v[20:21], off, off offset:444 ; 8-byte Folded Reload
	v_add_f64 v[22:23], v[22:23], v[24:25]
	v_mul_f64 v[24:25], v[223:224], s[24:25]
	s_delay_alu instid0(VALU_DEP_2) | instskip(NEXT) | instid1(VALU_DEP_2)
	v_add_f64 v[14:15], v[22:23], v[14:15]
	v_add_f64 v[24:25], v[26:27], -v[24:25]
	v_mul_f64 v[26:27], v[208:209], s[22:23]
	s_delay_alu instid0(VALU_DEP_2) | instskip(NEXT) | instid1(VALU_DEP_2)
	v_add_f64 v[12:13], v[24:25], v[12:13]
	v_add_f64 v[26:27], v[26:27], v[28:29]
	s_waitcnt vmcnt(1)
	v_add_f64 v[16:17], v[18:19], -v[16:17]
	v_mul_f64 v[18:19], v[219:220], s[26:27]
	s_waitcnt vmcnt(0)
	s_delay_alu instid0(VALU_DEP_1) | instskip(NEXT) | instid1(VALU_DEP_4)
	v_add_f64 v[18:19], v[18:19], v[20:21]
	v_add_f64 v[20:21], v[26:27], v[14:15]
	s_delay_alu instid0(VALU_DEP_4)
	v_add_f64 v[14:15], v[16:17], v[12:13]
	scratch_load_b64 v[16:17], off, off offset:220 ; 8-byte Folded Reload
	v_add_f64 v[12:13], v[18:19], v[20:21]
	s_clause 0x1
	scratch_load_b64 v[18:19], off, off offset:244
	scratch_load_b64 v[20:21], off, off offset:252
	s_waitcnt vmcnt(2)
	v_add_f64 v[16:17], v[221:222], v[16:17]
	s_waitcnt vmcnt(1)
	v_add_f64 v[18:19], v[229:230], v[18:19]
	s_waitcnt vmcnt(0)
	s_delay_alu instid0(VALU_DEP_2)
	v_add_f64 v[16:17], v[16:17], v[20:21]
	scratch_load_b64 v[20:21], off, off offset:276 ; 8-byte Folded Reload
	s_waitcnt vmcnt(0)
	v_add_f64 v[18:19], v[18:19], v[20:21]
	scratch_load_b64 v[20:21], off, off offset:284 ; 8-byte Folded Reload
	s_waitcnt vmcnt(0)
	;; [unrolled: 3-line block ×7, first 2 shown]
	v_add_f64 v[18:19], v[18:19], v[20:21]
	scratch_load_b64 v[20:21], off, off offset:380 ; 8-byte Folded Reload
	v_add_f64 v[18:19], v[18:19], v[88:89]
	s_waitcnt vmcnt(0)
	v_add_f64 v[16:17], v[16:17], v[20:21]
	scratch_load_b64 v[20:21], off, off offset:324 ; 8-byte Folded Reload
	s_waitcnt vmcnt(0)
	v_add_f64 v[16:17], v[16:17], v[20:21]
	scratch_load_b64 v[20:21], off, off offset:332 ; 8-byte Folded Reload
	;; [unrolled: 3-line block ×10, first 2 shown]
	s_waitcnt vmcnt(0)
	v_add_f64 v[16:17], v[20:21], v[16:17]
	s_clause 0x1
	scratch_load_b32 v20, off, off offset:192
	scratch_load_b32 v21, off, off offset:188
	s_waitcnt vmcnt(1)
	v_mul_u32_u24_e32 v20, 0x82, v20
	s_waitcnt vmcnt(0)
	s_delay_alu instid0(VALU_DEP_1)
	v_add_lshl_u32 v20, v20, v21, 4
	ds_store_b128 v20, v[96:99] offset:320
	ds_store_b128 v20, v[0:3] offset:480
	ds_store_b128 v20, v[4:7] offset:640
	ds_store_b128 v20, v[84:87] offset:1280
	ds_store_b128 v20, v[80:83] offset:1440
	ds_store_b128 v20, v[72:75] offset:1600
	ds_store_b128 v20, v[68:71] offset:1760
	ds_store_b128 v20, v[8:11] offset:800
	ds_store_b128 v20, v[76:79] offset:1120
	ds_store_b128 v20, v[92:95] offset:960
	ds_store_b128 v20, v[12:15] offset:160
	ds_store_b128 v20, v[16:19]
	ds_store_b128 v20, v[64:67] offset:1920
.LBB0_13:
	s_or_b32 exec_lo, exec_lo, s1
	s_waitcnt lgkmcnt(0)
	s_barrier
	buffer_gl0_inv
	ds_load_b128 v[88:91], v212
	ds_load_b128 v[124:127], v212 offset:4160
	ds_load_b128 v[104:107], v212 offset:8320
	;; [unrolled: 1-line block ×6, first 2 shown]
	s_and_saveexec_b32 s1, s0
	s_cbranch_execz .LBB0_15
; %bb.14:
	ds_load_b128 v[76:79], v212 offset:2912
	ds_load_b128 v[84:87], v212 offset:7072
	;; [unrolled: 1-line block ×7, first 2 shown]
	s_waitcnt lgkmcnt(0)
	scratch_store_b128 off, v[0:3], off offset:4 ; 16-byte Folded Spill
.LBB0_15:
	s_or_b32 exec_lo, exec_lo, s1
	s_waitcnt lgkmcnt(5)
	v_mul_f64 v[0:1], v[122:123], v[126:127]
	v_mul_f64 v[2:3], v[122:123], v[124:125]
	s_waitcnt lgkmcnt(4)
	v_mul_f64 v[4:5], v[118:119], v[106:107]
	v_mul_f64 v[6:7], v[118:119], v[104:105]
	;; [unrolled: 3-line block ×3, first 2 shown]
	v_mul_f64 v[12:13], v[110:111], v[102:103]
	v_mul_f64 v[14:15], v[110:111], v[100:101]
	;; [unrolled: 1-line block ×6, first 2 shown]
	s_mov_b32 s10, 0x37e14327
	s_mov_b32 s14, 0xe976ee23
	;; [unrolled: 1-line block ×20, first 2 shown]
	s_waitcnt_vscnt null, 0x0
	s_barrier
	buffer_gl0_inv
	v_fma_f64 v[0:1], v[120:121], v[124:125], v[0:1]
	v_fma_f64 v[2:3], v[120:121], v[126:127], -v[2:3]
	v_fma_f64 v[4:5], v[116:117], v[104:105], v[4:5]
	v_fma_f64 v[6:7], v[116:117], v[106:107], -v[6:7]
	;; [unrolled: 2-line block ×6, first 2 shown]
	v_add_f64 v[24:25], v[0:1], v[8:9]
	v_add_f64 v[26:27], v[2:3], v[10:11]
	;; [unrolled: 1-line block ×4, first 2 shown]
	v_add_f64 v[4:5], v[4:5], -v[12:13]
	v_add_f64 v[6:7], v[6:7], -v[14:15]
	v_add_f64 v[12:13], v[16:17], v[20:21]
	v_add_f64 v[14:15], v[18:19], v[22:23]
	v_add_f64 v[16:17], v[20:21], -v[16:17]
	v_add_f64 v[18:19], v[22:23], -v[18:19]
	;; [unrolled: 1-line block ×4, first 2 shown]
	v_add_f64 v[0:1], v[28:29], v[24:25]
	v_add_f64 v[2:3], v[30:31], v[26:27]
	v_add_f64 v[20:21], v[24:25], -v[12:13]
	v_add_f64 v[22:23], v[26:27], -v[14:15]
	;; [unrolled: 1-line block ×6, first 2 shown]
	v_add_f64 v[4:5], v[16:17], v[4:5]
	v_add_f64 v[6:7], v[18:19], v[6:7]
	v_add_f64 v[16:17], v[8:9], -v[16:17]
	v_add_f64 v[18:19], v[10:11], -v[18:19]
	;; [unrolled: 1-line block ×4, first 2 shown]
	v_add_f64 v[92:93], v[12:13], v[0:1]
	v_add_f64 v[94:95], v[14:15], v[2:3]
	v_add_f64 v[12:13], v[12:13], -v[28:29]
	v_add_f64 v[14:15], v[14:15], -v[30:31]
	v_mul_f64 v[20:21], v[20:21], s[10:11]
	v_mul_f64 v[22:23], v[22:23], s[10:11]
	;; [unrolled: 1-line block ×6, first 2 shown]
	v_add_f64 v[4:5], v[4:5], v[8:9]
	v_add_f64 v[6:7], v[6:7], v[10:11]
	v_add_f64 v[0:1], v[88:89], v[92:93]
	v_add_f64 v[2:3], v[90:91], v[94:95]
	v_mul_f64 v[28:29], v[12:13], s[18:19]
	v_mul_f64 v[30:31], v[14:15], s[18:19]
	v_fma_f64 v[8:9], v[12:13], s[18:19], v[20:21]
	v_fma_f64 v[10:11], v[14:15], s[18:19], v[22:23]
	;; [unrolled: 1-line block ×4, first 2 shown]
	v_fma_f64 v[32:33], v[36:37], s[8:9], -v[32:33]
	v_fma_f64 v[34:35], v[38:39], s[8:9], -v[34:35]
	;; [unrolled: 1-line block ×6, first 2 shown]
	v_fma_f64 v[36:37], v[92:93], s[12:13], v[0:1]
	v_fma_f64 v[38:39], v[94:95], s[12:13], v[2:3]
	v_fma_f64 v[24:25], v[24:25], s[16:17], -v[28:29]
	v_fma_f64 v[26:27], v[26:27], s[16:17], -v[30:31]
	v_fma_f64 v[28:29], v[4:5], s[26:27], v[12:13]
	v_fma_f64 v[30:31], v[6:7], s[26:27], v[14:15]
	;; [unrolled: 1-line block ×6, first 2 shown]
	v_add_f64 v[92:93], v[8:9], v[36:37]
	v_add_f64 v[94:95], v[10:11], v[38:39]
	;; [unrolled: 1-line block ×7, first 2 shown]
	v_add_f64 v[6:7], v[94:95], -v[28:29]
	v_add_f64 v[8:9], v[90:91], v[20:21]
	v_add_f64 v[10:11], v[22:23], -v[88:89]
	v_add_f64 v[12:13], v[16:17], -v[34:35]
	v_add_f64 v[14:15], v[32:33], v[18:19]
	v_add_f64 v[16:17], v[34:35], v[16:17]
	v_add_f64 v[18:19], v[18:19], -v[32:33]
	v_add_f64 v[20:21], v[20:21], -v[90:91]
	v_add_f64 v[22:23], v[88:89], v[22:23]
	v_add_f64 v[24:25], v[92:93], -v[30:31]
	v_add_f64 v[26:27], v[28:29], v[94:95]
	ds_store_b128 v213, v[0:3]
	ds_store_b128 v213, v[4:7] offset:2080
	ds_store_b128 v213, v[8:11] offset:4160
	;; [unrolled: 1-line block ×6, first 2 shown]
	s_and_saveexec_b32 s1, s0
	s_cbranch_execz .LBB0_17
; %bb.16:
	scratch_load_b128 v[24:27], off, off offset:4 ; 16-byte Folded Reload
	v_mul_f64 v[2:3], v[46:47], v[84:85]
	v_mul_f64 v[4:5], v[62:63], v[64:65]
	;; [unrolled: 1-line block ×10, first 2 shown]
	v_fma_f64 v[2:3], v[44:45], v[86:87], -v[2:3]
	v_fma_f64 v[4:5], v[60:61], v[66:67], -v[4:5]
	;; [unrolled: 1-line block ×3, first 2 shown]
	v_fma_f64 v[8:9], v[44:45], v[84:85], v[8:9]
	v_fma_f64 v[12:13], v[40:41], v[80:81], v[12:13]
	;; [unrolled: 1-line block ×5, first 2 shown]
	v_fma_f64 v[20:21], v[56:57], v[74:75], -v[20:21]
	v_fma_f64 v[22:23], v[52:53], v[70:71], -v[22:23]
	v_add_f64 v[30:31], v[12:13], v[14:15]
	v_add_f64 v[12:13], v[12:13], -v[14:15]
	v_add_f64 v[32:33], v[16:17], -v[18:19]
	v_add_f64 v[16:17], v[18:19], v[16:17]
	v_add_f64 v[14:15], v[20:21], v[22:23]
	v_add_f64 v[18:19], v[22:23], -v[20:21]
	s_waitcnt vmcnt(0)
	v_mul_f64 v[0:1], v[50:51], v[24:25]
	v_mul_f64 v[10:11], v[50:51], v[26:27]
	s_delay_alu instid0(VALU_DEP_2) | instskip(NEXT) | instid1(VALU_DEP_2)
	v_fma_f64 v[0:1], v[48:49], v[26:27], -v[0:1]
	v_fma_f64 v[10:11], v[48:49], v[24:25], v[10:11]
	v_add_f64 v[26:27], v[6:7], v[4:5]
	v_add_f64 v[4:5], v[6:7], -v[4:5]
	s_delay_alu instid0(VALU_DEP_4) | instskip(NEXT) | instid1(VALU_DEP_4)
	v_add_f64 v[24:25], v[2:3], v[0:1]
	v_add_f64 v[28:29], v[8:9], v[10:11]
	v_add_f64 v[8:9], v[8:9], -v[10:11]
	v_add_f64 v[6:7], v[2:3], -v[0:1]
	;; [unrolled: 1-line block ×4, first 2 shown]
	v_add_f64 v[10:11], v[26:27], v[24:25]
	v_add_f64 v[0:1], v[30:31], v[28:29]
	v_add_f64 v[20:21], v[24:25], -v[14:15]
	v_add_f64 v[22:23], v[28:29], -v[16:17]
	;; [unrolled: 1-line block ×5, first 2 shown]
	v_add_f64 v[12:13], v[32:33], v[12:13]
	v_add_f64 v[4:5], v[18:19], v[4:5]
	v_mul_f64 v[32:33], v[2:3], s[14:15]
	v_add_f64 v[18:19], v[6:7], -v[18:19]
	v_add_f64 v[24:25], v[26:27], -v[24:25]
	v_mul_f64 v[36:37], v[36:37], s[14:15]
	v_add_f64 v[28:29], v[30:31], -v[28:29]
	v_add_f64 v[10:11], v[14:15], v[10:11]
	v_add_f64 v[14:15], v[14:15], -v[26:27]
	v_add_f64 v[40:41], v[16:17], v[0:1]
	v_add_f64 v[16:17], v[16:17], -v[30:31]
	v_mul_f64 v[20:21], v[20:21], s[10:11]
	v_mul_f64 v[22:23], v[22:23], s[10:11]
	;; [unrolled: 1-line block ×4, first 2 shown]
	v_add_f64 v[8:9], v[12:13], v[8:9]
	v_add_f64 v[4:5], v[4:5], v[6:7]
	v_fma_f64 v[6:7], v[42:43], s[22:23], v[32:33]
	v_fma_f64 v[32:33], v[34:35], s[8:9], -v[32:33]
	v_fma_f64 v[34:35], v[38:39], s[8:9], -v[36:37]
	v_add_f64 v[2:3], v[78:79], v[10:11]
	v_mul_f64 v[26:27], v[14:15], s[18:19]
	v_add_f64 v[0:1], v[76:77], v[40:41]
	v_mul_f64 v[30:31], v[16:17], s[18:19]
	v_fma_f64 v[12:13], v[14:15], s[18:19], v[20:21]
	v_fma_f64 v[14:15], v[16:17], s[18:19], v[22:23]
	v_fma_f64 v[16:17], v[42:43], s[24:25], -v[44:45]
	v_fma_f64 v[20:21], v[24:25], s[20:21], -v[20:21]
	;; [unrolled: 1-line block ×3, first 2 shown]
	v_fma_f64 v[10:11], v[10:11], s[12:13], v[2:3]
	v_fma_f64 v[24:25], v[24:25], s[16:17], -v[26:27]
	v_fma_f64 v[26:27], v[18:19], s[22:23], v[36:37]
	v_fma_f64 v[18:19], v[18:19], s[24:25], -v[46:47]
	;; [unrolled: 2-line block ×3, first 2 shown]
	v_fma_f64 v[30:31], v[8:9], s[26:27], v[6:7]
	v_fma_f64 v[16:17], v[8:9], s[26:27], v[16:17]
	;; [unrolled: 1-line block ×3, first 2 shown]
	v_add_f64 v[12:13], v[12:13], v[10:11]
	v_add_f64 v[20:21], v[20:21], v[10:11]
	v_fma_f64 v[32:33], v[4:5], s[26:27], v[26:27]
	v_fma_f64 v[38:39], v[4:5], s[26:27], v[18:19]
	;; [unrolled: 1-line block ×3, first 2 shown]
	v_add_f64 v[28:29], v[28:29], v[36:37]
	v_add_f64 v[24:25], v[24:25], v[10:11]
	;; [unrolled: 1-line block ×6, first 2 shown]
	v_add_f64 v[22:23], v[20:21], -v[16:17]
	v_add_f64 v[26:27], v[12:13], -v[30:31]
	;; [unrolled: 1-line block ×3, first 2 shown]
	v_add_f64 v[12:13], v[4:5], v[28:29]
	scratch_load_b32 v28, off, off offset:196 ; 4-byte Folded Reload
	v_add_f64 v[14:15], v[24:25], -v[8:9]
	v_add_f64 v[18:19], v[8:9], v[24:25]
	v_add_f64 v[24:25], v[32:33], v[34:35]
	;; [unrolled: 1-line block ×3, first 2 shown]
	v_add_f64 v[8:9], v[40:41], -v[38:39]
	v_add_f64 v[4:5], v[34:35], -v[32:33]
	s_waitcnt vmcnt(0)
	v_lshlrev_b32_e32 v28, 4, v28
	ds_store_b128 v28, v[0:3] offset:14560
	ds_store_b128 v28, v[24:27] offset:16640
	;; [unrolled: 1-line block ×7, first 2 shown]
.LBB0_17:
	s_or_b32 exec_lo, exec_lo, s1
	s_waitcnt lgkmcnt(0)
	s_barrier
	buffer_gl0_inv
	ds_load_b128 v[0:3], v212 offset:14560
	ds_load_b128 v[4:7], v212 offset:17472
	;; [unrolled: 1-line block ×6, first 2 shown]
	s_mul_i32 s0, s5, 0xb60
	s_mul_hi_u32 s1, s4, 0xb60
	s_waitcnt lgkmcnt(5)
	v_mul_f64 v[24:25], v[138:139], v[2:3]
	v_mul_f64 v[26:27], v[138:139], v[0:1]
	s_waitcnt lgkmcnt(4)
	v_mul_f64 v[28:29], v[142:143], v[6:7]
	v_mul_f64 v[30:31], v[142:143], v[4:5]
	s_waitcnt lgkmcnt(3)
	v_mul_f64 v[32:33], v[146:147], v[10:11]
	v_mul_f64 v[34:35], v[146:147], v[8:9]
	s_waitcnt lgkmcnt(2)
	v_mul_f64 v[36:37], v[150:151], v[14:15]
	v_mul_f64 v[38:39], v[150:151], v[12:13]
	s_waitcnt lgkmcnt(1)
	v_mul_f64 v[40:41], v[158:159], v[18:19]
	v_mul_f64 v[42:43], v[158:159], v[16:17]
	v_fma_f64 v[24:25], v[136:137], v[0:1], v[24:25]
	v_fma_f64 v[26:27], v[136:137], v[2:3], -v[26:27]
	v_fma_f64 v[28:29], v[140:141], v[4:5], v[28:29]
	v_fma_f64 v[30:31], v[140:141], v[6:7], -v[30:31]
	;; [unrolled: 2-line block ×5, first 2 shown]
	ds_load_b128 v[0:3], v212
	ds_load_b128 v[4:7], v212 offset:2912
	ds_load_b128 v[8:11], v212 offset:5824
	ds_load_b128 v[12:15], v212 offset:8736
	s_waitcnt lgkmcnt(3)
	v_add_f64 v[16:17], v[0:1], -v[24:25]
	v_add_f64 v[18:19], v[2:3], -v[26:27]
	s_waitcnt lgkmcnt(2)
	v_add_f64 v[24:25], v[4:5], -v[28:29]
	v_add_f64 v[26:27], v[6:7], -v[30:31]
	;; [unrolled: 3-line block ×4, first 2 shown]
	v_add_f64 v[36:37], v[20:21], -v[40:41]
	v_add_f64 v[38:39], v[22:23], -v[42:43]
	v_fma_f64 v[0:1], v[0:1], 2.0, -v[16:17]
	v_fma_f64 v[2:3], v[2:3], 2.0, -v[18:19]
	;; [unrolled: 1-line block ×10, first 2 shown]
	ds_store_b128 v212, v[24:27] offset:17472
	ds_store_b128 v212, v[28:31] offset:20384
	;; [unrolled: 1-line block ×4, first 2 shown]
	ds_store_b128 v212, v[0:3]
	ds_store_b128 v212, v[4:7] offset:2912
	ds_store_b128 v212, v[8:11] offset:5824
	;; [unrolled: 1-line block ×5, first 2 shown]
	s_waitcnt lgkmcnt(0)
	s_barrier
	buffer_gl0_inv
	ds_load_b128 v[0:3], v212
	ds_load_b128 v[4:7], v212 offset:2912
	scratch_load_b64 v[8:9], off, off offset:20 ; 8-byte Folded Reload
	s_waitcnt vmcnt(0)
	v_mov_b32_e32 v46, v8
	ds_load_b128 v[8:11], v212 offset:5824
	ds_load_b128 v[12:15], v212 offset:8736
	scratch_load_b32 v87, off, off          ; 4-byte Folded Reload
	ds_load_b128 v[16:19], v212 offset:11648
	ds_load_b128 v[20:23], v212 offset:14560
	;; [unrolled: 1-line block ×6, first 2 shown]
	s_clause 0x1
	scratch_load_b128 v[88:91], off, off offset:28
	scratch_load_b128 v[98:101], off, off offset:92
	v_mad_u64_u32 v[40:41], null, s6, v46, 0
	scratch_load_b128 v[106:109], off, off offset:140 ; 16-byte Folded Reload
	s_waitcnt vmcnt(3)
	v_mad_u64_u32 v[42:43], null, s4, v87, 0
	s_waitcnt vmcnt(2) lgkmcnt(9)
	v_mul_f64 v[47:48], v[90:91], v[0:1]
	s_waitcnt vmcnt(1) lgkmcnt(6)
	v_mul_f64 v[57:58], v[100:101], v[14:15]
	v_mul_f64 v[59:60], v[100:101], v[12:13]
	scratch_load_b128 v[100:103], off, off offset:108 ; 16-byte Folded Reload
	s_mulk_i32 s4, 0xb60
	s_waitcnt vmcnt(1) lgkmcnt(3)
	v_mul_f64 v[69:70], v[108:109], v[26:27]
	v_mad_u64_u32 v[44:45], null, s7, v46, v[41:42]
	v_mul_f64 v[45:46], v[90:91], v[2:3]
	scratch_load_b128 v[90:93], off, off offset:44 ; 16-byte Folded Reload
	v_mul_f64 v[71:72], v[108:109], v[24:25]
	scratch_load_b128 v[108:111], off, off offset:156 ; 16-byte Folded Reload
	v_mad_u64_u32 v[85:86], null, s5, v87, v[43:44]
	v_mov_b32_e32 v41, v44
	s_delay_alu instid0(VALU_DEP_1) | instskip(NEXT) | instid1(VALU_DEP_3)
	v_lshlrev_b64 v[40:41], 4, v[40:41]
	v_mov_b32_e32 v43, v85
	s_delay_alu instid0(VALU_DEP_1) | instskip(NEXT) | instid1(VALU_DEP_3)
	v_lshlrev_b64 v[42:43], 4, v[42:43]
	v_add_co_u32 v40, vcc_lo, s2, v40
	s_delay_alu instid0(VALU_DEP_4) | instskip(SKIP_1) | instid1(VALU_DEP_2)
	v_add_co_ci_u32_e32 v41, vcc_lo, s3, v41, vcc_lo
	s_add_i32 s2, s1, s0
	v_add_co_u32 v40, vcc_lo, v40, v42
	s_delay_alu instid0(VALU_DEP_2)
	v_add_co_ci_u32_e32 v41, vcc_lo, v41, v43, vcc_lo
	s_mov_b32 s0, 0x12012012
	v_fma_f64 v[2:3], v[88:89], v[2:3], -v[47:48]
	v_fma_f64 v[12:13], v[98:99], v[12:13], v[57:58]
	v_fma_f64 v[14:15], v[98:99], v[14:15], -v[59:60]
	v_add_co_u32 v42, vcc_lo, v40, s4
	v_add_co_ci_u32_e32 v43, vcc_lo, s2, v41, vcc_lo
	s_mov_b32 s1, 0x3f420120
	v_fma_f64 v[0:1], v[88:89], v[0:1], v[45:46]
	s_delay_alu instid0(VALU_DEP_3) | instskip(NEXT) | instid1(VALU_DEP_3)
	v_add_co_u32 v44, vcc_lo, v42, s4
	v_add_co_ci_u32_e32 v45, vcc_lo, s2, v43, vcc_lo
	v_fma_f64 v[24:25], v[106:107], v[24:25], v[69:70]
	v_fma_f64 v[26:27], v[106:107], v[26:27], -v[71:72]
	s_delay_alu instid0(VALU_DEP_4) | instskip(NEXT) | instid1(VALU_DEP_4)
	v_add_co_u32 v46, vcc_lo, v44, s4
	v_add_co_ci_u32_e32 v47, vcc_lo, s2, v45, vcc_lo
	s_delay_alu instid0(VALU_DEP_2)
	v_add_co_u32 v48, vcc_lo, v46, s4
	v_mul_f64 v[2:3], v[2:3], s[0:1]
	v_mul_f64 v[12:13], v[12:13], s[0:1]
	;; [unrolled: 1-line block ×6, first 2 shown]
	s_waitcnt vmcnt(2)
	v_mul_f64 v[65:66], v[102:103], v[22:23]
	v_mul_f64 v[67:68], v[102:103], v[20:21]
	scratch_load_b128 v[102:105], off, off offset:124 ; 16-byte Folded Reload
	s_waitcnt vmcnt(2)
	v_mul_f64 v[49:50], v[92:93], v[6:7]
	v_mul_f64 v[51:52], v[92:93], v[4:5]
	scratch_load_b128 v[92:95], off, off offset:60 ; 16-byte Folded Reload
	s_waitcnt vmcnt(2) lgkmcnt(1)
	v_mul_f64 v[77:78], v[110:111], v[34:35]
	v_mul_f64 v[79:80], v[110:111], v[32:33]
	scratch_load_b128 v[110:113], off, off offset:172 ; 16-byte Folded Reload
	v_fma_f64 v[20:21], v[100:101], v[20:21], v[65:66]
	v_fma_f64 v[22:23], v[100:101], v[22:23], -v[67:68]
	v_fma_f64 v[4:5], v[90:91], v[4:5], v[49:50]
	v_fma_f64 v[6:7], v[90:91], v[6:7], -v[51:52]
	v_add_co_ci_u32_e32 v49, vcc_lo, s2, v47, vcc_lo
	v_add_co_u32 v50, vcc_lo, v48, s4
	v_fma_f64 v[32:33], v[108:109], v[32:33], v[77:78]
	v_fma_f64 v[34:35], v[108:109], v[34:35], -v[79:80]
	s_delay_alu instid0(VALU_DEP_4) | instskip(NEXT) | instid1(VALU_DEP_4)
	v_add_co_ci_u32_e32 v51, vcc_lo, s2, v49, vcc_lo
	v_add_co_u32 v52, vcc_lo, v50, s4
	v_mul_f64 v[20:21], v[20:21], s[0:1]
	v_mul_f64 v[22:23], v[22:23], s[0:1]
	;; [unrolled: 1-line block ×6, first 2 shown]
	s_waitcnt vmcnt(2)
	v_mul_f64 v[73:74], v[104:105], v[30:31]
	v_mul_f64 v[75:76], v[104:105], v[28:29]
	s_waitcnt vmcnt(1)
	v_mul_f64 v[53:54], v[94:95], v[10:11]
	v_mul_f64 v[55:56], v[94:95], v[8:9]
	scratch_load_b128 v[94:97], off, off offset:76 ; 16-byte Folded Reload
	s_waitcnt vmcnt(1) lgkmcnt(0)
	v_mul_f64 v[81:82], v[112:113], v[38:39]
	v_mul_f64 v[83:84], v[112:113], v[36:37]
	v_fma_f64 v[28:29], v[102:103], v[28:29], v[73:74]
	v_fma_f64 v[30:31], v[102:103], v[30:31], -v[75:76]
	v_fma_f64 v[8:9], v[92:93], v[8:9], v[53:54]
	v_fma_f64 v[10:11], v[92:93], v[10:11], -v[55:56]
	v_add_co_ci_u32_e32 v53, vcc_lo, s2, v51, vcc_lo
	v_add_co_u32 v54, vcc_lo, v52, s4
	v_fma_f64 v[36:37], v[110:111], v[36:37], v[81:82]
	v_fma_f64 v[38:39], v[110:111], v[38:39], -v[83:84]
	s_delay_alu instid0(VALU_DEP_4) | instskip(NEXT) | instid1(VALU_DEP_4)
	v_add_co_ci_u32_e32 v55, vcc_lo, s2, v53, vcc_lo
	v_add_co_u32 v56, vcc_lo, v54, s4
	s_delay_alu instid0(VALU_DEP_2) | instskip(NEXT) | instid1(VALU_DEP_2)
	v_add_co_ci_u32_e32 v57, vcc_lo, s2, v55, vcc_lo
	v_add_co_u32 v58, vcc_lo, v56, s4
	s_delay_alu instid0(VALU_DEP_2)
	v_add_co_ci_u32_e32 v59, vcc_lo, s2, v57, vcc_lo
	v_mul_f64 v[28:29], v[28:29], s[0:1]
	v_mul_f64 v[30:31], v[30:31], s[0:1]
	v_mul_f64 v[8:9], v[8:9], s[0:1]
	v_mul_f64 v[10:11], v[10:11], s[0:1]
	v_mul_f64 v[36:37], v[36:37], s[0:1]
	v_mul_f64 v[38:39], v[38:39], s[0:1]
	s_waitcnt vmcnt(0)
	v_mul_f64 v[61:62], v[96:97], v[18:19]
	v_mul_f64 v[63:64], v[96:97], v[16:17]
	s_delay_alu instid0(VALU_DEP_2) | instskip(NEXT) | instid1(VALU_DEP_2)
	v_fma_f64 v[16:17], v[94:95], v[16:17], v[61:62]
	v_fma_f64 v[18:19], v[94:95], v[18:19], -v[63:64]
	s_delay_alu instid0(VALU_DEP_2) | instskip(NEXT) | instid1(VALU_DEP_2)
	v_mul_f64 v[16:17], v[16:17], s[0:1]
	v_mul_f64 v[18:19], v[18:19], s[0:1]
	s_clause 0x4
	global_store_b128 v[40:41], v[0:3], off
	global_store_b128 v[42:43], v[4:7], off
	;; [unrolled: 1-line block ×10, first 2 shown]
.LBB0_18:
	s_nop 0
	s_sendmsg sendmsg(MSG_DEALLOC_VGPRS)
	s_endpgm
	.section	.rodata,"a",@progbits
	.p2align	6, 0x0
	.amdhsa_kernel bluestein_single_back_len1820_dim1_dp_op_CI_CI
		.amdhsa_group_segment_fixed_size 29120
		.amdhsa_private_segment_fixed_size 472
		.amdhsa_kernarg_size 104
		.amdhsa_user_sgpr_count 15
		.amdhsa_user_sgpr_dispatch_ptr 0
		.amdhsa_user_sgpr_queue_ptr 0
		.amdhsa_user_sgpr_kernarg_segment_ptr 1
		.amdhsa_user_sgpr_dispatch_id 0
		.amdhsa_user_sgpr_private_segment_size 0
		.amdhsa_wavefront_size32 1
		.amdhsa_uses_dynamic_stack 0
		.amdhsa_enable_private_segment 1
		.amdhsa_system_sgpr_workgroup_id_x 1
		.amdhsa_system_sgpr_workgroup_id_y 0
		.amdhsa_system_sgpr_workgroup_id_z 0
		.amdhsa_system_sgpr_workgroup_info 0
		.amdhsa_system_vgpr_workitem_id 0
		.amdhsa_next_free_vgpr 256
		.amdhsa_next_free_sgpr 46
		.amdhsa_reserve_vcc 1
		.amdhsa_float_round_mode_32 0
		.amdhsa_float_round_mode_16_64 0
		.amdhsa_float_denorm_mode_32 3
		.amdhsa_float_denorm_mode_16_64 3
		.amdhsa_dx10_clamp 1
		.amdhsa_ieee_mode 1
		.amdhsa_fp16_overflow 0
		.amdhsa_workgroup_processor_mode 1
		.amdhsa_memory_ordered 1
		.amdhsa_forward_progress 0
		.amdhsa_shared_vgpr_count 0
		.amdhsa_exception_fp_ieee_invalid_op 0
		.amdhsa_exception_fp_denorm_src 0
		.amdhsa_exception_fp_ieee_div_zero 0
		.amdhsa_exception_fp_ieee_overflow 0
		.amdhsa_exception_fp_ieee_underflow 0
		.amdhsa_exception_fp_ieee_inexact 0
		.amdhsa_exception_int_div_zero 0
	.end_amdhsa_kernel
	.text
.Lfunc_end0:
	.size	bluestein_single_back_len1820_dim1_dp_op_CI_CI, .Lfunc_end0-bluestein_single_back_len1820_dim1_dp_op_CI_CI
                                        ; -- End function
	.section	.AMDGPU.csdata,"",@progbits
; Kernel info:
; codeLenInByte = 24068
; NumSgprs: 48
; NumVgprs: 256
; ScratchSize: 472
; MemoryBound: 0
; FloatMode: 240
; IeeeMode: 1
; LDSByteSize: 29120 bytes/workgroup (compile time only)
; SGPRBlocks: 5
; VGPRBlocks: 31
; NumSGPRsForWavesPerEU: 48
; NumVGPRsForWavesPerEU: 256
; Occupancy: 5
; WaveLimiterHint : 1
; COMPUTE_PGM_RSRC2:SCRATCH_EN: 1
; COMPUTE_PGM_RSRC2:USER_SGPR: 15
; COMPUTE_PGM_RSRC2:TRAP_HANDLER: 0
; COMPUTE_PGM_RSRC2:TGID_X_EN: 1
; COMPUTE_PGM_RSRC2:TGID_Y_EN: 0
; COMPUTE_PGM_RSRC2:TGID_Z_EN: 0
; COMPUTE_PGM_RSRC2:TIDIG_COMP_CNT: 0
	.text
	.p2alignl 7, 3214868480
	.fill 96, 4, 3214868480
	.type	__hip_cuid_8446ed7268273f06,@object ; @__hip_cuid_8446ed7268273f06
	.section	.bss,"aw",@nobits
	.globl	__hip_cuid_8446ed7268273f06
__hip_cuid_8446ed7268273f06:
	.byte	0                               ; 0x0
	.size	__hip_cuid_8446ed7268273f06, 1

	.ident	"AMD clang version 19.0.0git (https://github.com/RadeonOpenCompute/llvm-project roc-6.4.0 25133 c7fe45cf4b819c5991fe208aaa96edf142730f1d)"
	.section	".note.GNU-stack","",@progbits
	.addrsig
	.addrsig_sym __hip_cuid_8446ed7268273f06
	.amdgpu_metadata
---
amdhsa.kernels:
  - .args:
      - .actual_access:  read_only
        .address_space:  global
        .offset:         0
        .size:           8
        .value_kind:     global_buffer
      - .actual_access:  read_only
        .address_space:  global
        .offset:         8
        .size:           8
        .value_kind:     global_buffer
      - .actual_access:  read_only
        .address_space:  global
        .offset:         16
        .size:           8
        .value_kind:     global_buffer
      - .actual_access:  read_only
        .address_space:  global
        .offset:         24
        .size:           8
        .value_kind:     global_buffer
      - .actual_access:  read_only
        .address_space:  global
        .offset:         32
        .size:           8
        .value_kind:     global_buffer
      - .offset:         40
        .size:           8
        .value_kind:     by_value
      - .address_space:  global
        .offset:         48
        .size:           8
        .value_kind:     global_buffer
      - .address_space:  global
        .offset:         56
        .size:           8
        .value_kind:     global_buffer
      - .address_space:  global
        .offset:         64
        .size:           8
        .value_kind:     global_buffer
      - .address_space:  global
        .offset:         72
        .size:           8
        .value_kind:     global_buffer
      - .offset:         80
        .size:           4
        .value_kind:     by_value
      - .address_space:  global
        .offset:         88
        .size:           8
        .value_kind:     global_buffer
      - .address_space:  global
        .offset:         96
        .size:           8
        .value_kind:     global_buffer
    .group_segment_fixed_size: 29120
    .kernarg_segment_align: 8
    .kernarg_segment_size: 104
    .language:       OpenCL C
    .language_version:
      - 2
      - 0
    .max_flat_workgroup_size: 182
    .name:           bluestein_single_back_len1820_dim1_dp_op_CI_CI
    .private_segment_fixed_size: 472
    .sgpr_count:     48
    .sgpr_spill_count: 0
    .symbol:         bluestein_single_back_len1820_dim1_dp_op_CI_CI.kd
    .uniform_work_group_size: 1
    .uses_dynamic_stack: false
    .vgpr_count:     256
    .vgpr_spill_count: 170
    .wavefront_size: 32
    .workgroup_processor_mode: 1
amdhsa.target:   amdgcn-amd-amdhsa--gfx1100
amdhsa.version:
  - 1
  - 2
...

	.end_amdgpu_metadata
